;; amdgpu-corpus repo=ROCm/rocFFT kind=compiled arch=gfx1201 opt=O3
	.text
	.amdgcn_target "amdgcn-amd-amdhsa--gfx1201"
	.amdhsa_code_object_version 6
	.protected	bluestein_single_back_len1170_dim1_sp_op_CI_CI ; -- Begin function bluestein_single_back_len1170_dim1_sp_op_CI_CI
	.globl	bluestein_single_back_len1170_dim1_sp_op_CI_CI
	.p2align	8
	.type	bluestein_single_back_len1170_dim1_sp_op_CI_CI,@function
bluestein_single_back_len1170_dim1_sp_op_CI_CI: ; @bluestein_single_back_len1170_dim1_sp_op_CI_CI
; %bb.0:
	s_load_b128 s[12:15], s[0:1], 0x28
	v_mul_u32_u24_e32 v1, 0x231, v0
	s_mov_b32 s2, exec_lo
	v_mov_b32_e32 v97, 0
	s_delay_alu instid0(VALU_DEP_2) | instskip(NEXT) | instid1(VALU_DEP_1)
	v_lshrrev_b32_e32 v1, 16, v1
	v_add_nc_u32_e32 v96, ttmp9, v1
	s_wait_kmcnt 0x0
	s_delay_alu instid0(VALU_DEP_1)
	v_cmpx_gt_u64_e64 s[12:13], v[96:97]
	s_cbranch_execz .LBB0_26
; %bb.1:
	s_clause 0x1
	s_load_b128 s[4:7], s[0:1], 0x18
	s_load_b128 s[8:11], s[0:1], 0x0
	v_mul_lo_u16 v1, 0x75, v1
	s_movk_i32 s2, 0xf160
	s_mov_b32 s3, -1
                                        ; implicit-def: $vgpr44
                                        ; implicit-def: $vgpr48
	s_delay_alu instid0(VALU_DEP_1) | instskip(NEXT) | instid1(VALU_DEP_1)
	v_sub_nc_u16 v22, v0, v1
	v_and_b32_e32 v121, 0xffff, v22
	s_delay_alu instid0(VALU_DEP_1)
	v_lshlrev_b32_e32 v122, 3, v121
	s_wait_kmcnt 0x0
	s_load_b128 s[16:19], s[4:5], 0x0
	s_clause 0x7
	global_load_b64 v[97:98], v122, s[8:9] offset:4680
	global_load_b64 v[99:100], v122, s[8:9] offset:5616
	;; [unrolled: 1-line block ×3, first 2 shown]
	global_load_b64 v[113:114], v122, s[8:9]
	global_load_b64 v[109:110], v122, s[8:9] offset:936
	global_load_b64 v[103:104], v122, s[8:9] offset:1872
	;; [unrolled: 1-line block ×4, first 2 shown]
	s_wait_kmcnt 0x0
	v_mad_co_u64_u32 v[0:1], null, s18, v96, 0
	v_mad_co_u64_u32 v[2:3], null, s16, v121, 0
	s_mul_u64 s[4:5], s[16:17], 0x1248
	s_mul_u64 s[2:3], s[16:17], s[2:3]
	s_delay_alu instid0(VALU_DEP_1) | instskip(NEXT) | instid1(VALU_DEP_1)
	v_mad_co_u64_u32 v[4:5], null, s19, v96, v[1:2]
	v_mad_co_u64_u32 v[5:6], null, s17, v121, v[3:4]
	v_mov_b32_e32 v1, v4
	s_delay_alu instid0(VALU_DEP_1) | instskip(NEXT) | instid1(VALU_DEP_3)
	v_lshlrev_b64_e32 v[0:1], 3, v[0:1]
	v_mov_b32_e32 v3, v5
	s_delay_alu instid0(VALU_DEP_2) | instskip(NEXT) | instid1(VALU_DEP_2)
	v_add_co_u32 v0, vcc_lo, s14, v0
	v_lshlrev_b64_e32 v[2:3], 3, v[2:3]
	s_delay_alu instid0(VALU_DEP_4) | instskip(NEXT) | instid1(VALU_DEP_2)
	v_add_co_ci_u32_e32 v1, vcc_lo, s15, v1, vcc_lo
	v_add_co_u32 v0, vcc_lo, v0, v2
	s_wait_alu 0xfffd
	s_delay_alu instid0(VALU_DEP_2) | instskip(NEXT) | instid1(VALU_DEP_2)
	v_add_co_ci_u32_e32 v1, vcc_lo, v1, v3, vcc_lo
	v_add_co_u32 v2, vcc_lo, v0, s4
	s_wait_alu 0xfffd
	s_delay_alu instid0(VALU_DEP_2) | instskip(NEXT) | instid1(VALU_DEP_2)
	v_add_co_ci_u32_e32 v3, vcc_lo, s5, v1, vcc_lo
	v_add_co_u32 v4, vcc_lo, v2, s2
	s_wait_alu 0xfffd
	s_delay_alu instid0(VALU_DEP_2)
	v_add_co_ci_u32_e32 v5, vcc_lo, s3, v3, vcc_lo
	s_clause 0x1
	global_load_b64 v[8:9], v[0:1], off
	global_load_b64 v[2:3], v[2:3], off
	v_add_co_u32 v6, vcc_lo, v4, s4
	s_wait_alu 0xfffd
	v_add_co_ci_u32_e32 v7, vcc_lo, s5, v5, vcc_lo
	s_delay_alu instid0(VALU_DEP_2) | instskip(SKIP_1) | instid1(VALU_DEP_2)
	v_add_co_u32 v0, vcc_lo, v6, s2
	s_wait_alu 0xfffd
	v_add_co_ci_u32_e32 v1, vcc_lo, s3, v7, vcc_lo
	s_clause 0x1
	global_load_b64 v[4:5], v[4:5], off
	global_load_b64 v[6:7], v[6:7], off
	v_add_co_u32 v10, vcc_lo, v0, s4
	s_wait_alu 0xfffd
	v_add_co_ci_u32_e32 v11, vcc_lo, s5, v1, vcc_lo
	global_load_b64 v[12:13], v[0:1], off
	v_add_co_u32 v0, vcc_lo, v10, s2
	s_wait_alu 0xfffd
	v_add_co_ci_u32_e32 v1, vcc_lo, s3, v11, vcc_lo
	;; [unrolled: 4-line block ×5, first 2 shown]
	global_load_b64 v[111:112], v122, s[8:9] offset:3744
	global_load_b64 v[20:21], v[0:1], off
	global_load_b64 v[115:116], v122, s[8:9] offset:8424
	global_load_b64 v[18:19], v[18:19], off
	s_load_b64 s[2:3], s[0:1], 0x38
	v_cmp_gt_u16_e64 s0, 0x5a, v22
	v_add_nc_u32_e32 v27, 0xc00, v122
	v_add_nc_u32_e32 v26, 0x1c00, v122
	s_load_b128 s[4:7], s[6:7], 0x0
	s_wait_loadcnt 0xb
	v_mul_f32_e32 v24, v9, v114
	s_wait_loadcnt 0xa
	v_mul_f32_e32 v22, v3, v98
	v_mul_f32_e32 v23, v2, v98
	v_mul_f32_e32 v25, v8, v114
	v_dual_fmac_f32 v24, v8, v113 :: v_dual_add_nc_u32 v1, 0x400, v122
	s_delay_alu instid0(VALU_DEP_4) | instskip(SKIP_4) | instid1(VALU_DEP_2)
	v_fmac_f32_e32 v22, v2, v97
	v_add_co_u32 v64, s1, 0x75, v121
	s_wait_alu 0xf1ff
	v_add_co_ci_u32_e64 v0, null, 0, 0, s1
	s_wait_loadcnt 0x9
	v_dual_mul_f32 v2, v5, v110 :: v_dual_lshlrev_b32 v127, 4, v64
	v_add_nc_u32_e32 v0, 0x1400, v122
	v_add_co_u32 v65, s1, 0xea, v121
	s_delay_alu instid0(VALU_DEP_3)
	v_fmac_f32_e32 v2, v4, v109
	v_fma_f32 v23, v3, v97, -v23
	s_wait_loadcnt 0x8
	v_dual_mul_f32 v3, v4, v110 :: v_dual_mul_f32 v4, v7, v100
	s_wait_loadcnt 0x7
	v_mul_f32_e32 v8, v13, v104
	v_fma_f32 v25, v9, v113, -v25
	ds_store_b64 v122, v[22:23] offset:4680
	v_mul_f32_e32 v9, v6, v100
	v_fmac_f32_e32 v4, v6, v99
	v_mul_f32_e32 v22, v12, v104
	s_wait_loadcnt 0x6
	v_mul_f32_e32 v6, v11, v102
	v_fma_f32 v3, v5, v109, -v3
	v_fma_f32 v5, v7, v99, -v9
	v_mul_f32_e32 v7, v10, v102
	v_fma_f32 v9, v13, v103, -v22
	s_wait_loadcnt 0x5
	v_dual_mul_f32 v13, v16, v106 :: v_dual_fmac_f32 v6, v10, v101
	s_wait_loadcnt 0x4
	v_mul_f32_e32 v10, v15, v108
	v_fmac_f32_e32 v8, v12, v103
	v_mul_f32_e32 v12, v17, v106
	v_fma_f32 v7, v11, v101, -v7
	v_fma_f32 v13, v17, v105, -v13
	v_mul_f32_e32 v11, v14, v108
	v_fmac_f32_e32 v10, v14, v107
	s_wait_loadcnt 0x2
	v_mul_f32_e32 v14, v21, v112
	v_mul_f32_e32 v17, v20, v112
	v_fmac_f32_e32 v12, v16, v105
	s_wait_loadcnt 0x0
	v_mul_f32_e32 v16, v19, v116
	v_mul_f32_e32 v22, v18, v116
	v_fma_f32 v11, v15, v107, -v11
	v_fmac_f32_e32 v14, v20, v111
	v_fma_f32 v15, v21, v111, -v17
	v_fmac_f32_e32 v16, v18, v115
	v_fma_f32 v17, v19, v115, -v22
	ds_store_2addr_b64 v122, v[24:25], v[2:3] offset1:117
	ds_store_2addr_b64 v0, v[4:5], v[6:7] offset0:62 offset1:179
	ds_store_2addr_b64 v1, v[8:9], v[12:13] offset0:106 offset1:223
	ds_store_b64 v122, v[14:15] offset:3744
	ds_store_2addr_b64 v26, v[10:11], v[16:17] offset0:40 offset1:157
	global_wb scope:SCOPE_SE
	s_wait_dscnt 0x0
	s_wait_kmcnt 0x0
	s_barrier_signal -1
	s_barrier_wait -1
	global_inv scope:SCOPE_SE
	ds_load_2addr_b64 v[2:5], v122 offset1:117
	ds_load_2addr_b64 v[6:9], v27 offset0:84 offset1:201
	ds_load_2addr_b64 v[10:13], v0 offset0:62 offset1:179
	;; [unrolled: 1-line block ×4, first 2 shown]
	s_wait_alu 0xf1ff
	v_add_co_ci_u32_e64 v22, null, 0, 0, s1
	v_add_co_u32 v135, s1, 0x15f, v121
	s_wait_alu 0xf1ff
	v_add_co_ci_u32_e64 v136, null, 0, 0, s1
	v_lshlrev_b32_e32 v128, 4, v121
	v_lshlrev_b32_e32 v126, 4, v65
	;; [unrolled: 1-line block ×3, first 2 shown]
	global_wb scope:SCOPE_SE
	s_wait_dscnt 0x0
	s_barrier_signal -1
	s_barrier_wait -1
	global_inv scope:SCOPE_SE
	v_dual_sub_f32 v26, v2, v8 :: v_dual_sub_f32 v27, v3, v9
	v_dual_sub_f32 v42, v4, v10 :: v_dual_sub_f32 v35, v17, v19
	;; [unrolled: 1-line block ×5, first 2 shown]
	v_fma_f32 v24, v2, 2.0, -v26
	v_fma_f32 v25, v3, 2.0, -v27
	;; [unrolled: 1-line block ×10, first 2 shown]
	ds_store_b128 v128, v[24:27]
	ds_store_b128 v127, v[40:43]
	;; [unrolled: 1-line block ×4, first 2 shown]
	ds_store_b128 v128, v[28:31] offset:7488
	global_wb scope:SCOPE_SE
	s_wait_dscnt 0x0
	s_barrier_signal -1
	s_barrier_wait -1
	global_inv scope:SCOPE_SE
	s_and_saveexec_b32 s1, s0
	s_cbranch_execz .LBB0_3
; %bb.2:
	v_add_nc_u32_e32 v2, 0x800, v122
	v_add_nc_u32_e32 v3, 0x1000, v122
	;; [unrolled: 1-line block ×3, first 2 shown]
	ds_load_2addr_b64 v[24:27], v122 offset1:90
	ds_load_2addr_b64 v[40:43], v1 offset0:52 offset1:142
	ds_load_2addr_b64 v[36:39], v2 offset0:104 offset1:194
	;; [unrolled: 1-line block ×5, first 2 shown]
	ds_load_b64 v[48:49], v122 offset:8640
.LBB0_3:
	s_wait_alu 0xfffe
	s_or_b32 exec_lo, exec_lo, s1
	v_and_b32_e32 v123, 1, v121
	s_delay_alu instid0(VALU_DEP_1) | instskip(NEXT) | instid1(VALU_DEP_1)
	v_mul_u32_u24_e32 v0, 12, v123
	v_lshlrev_b32_e32 v4, 3, v0
	s_clause 0x5
	global_load_b128 v[20:23], v4, s[10:11]
	global_load_b128 v[16:19], v4, s[10:11] offset:16
	global_load_b128 v[12:15], v4, s[10:11] offset:32
	;; [unrolled: 1-line block ×5, first 2 shown]
	global_wb scope:SCOPE_SE
	s_wait_loadcnt_dscnt 0x0
	s_barrier_signal -1
	s_barrier_wait -1
	global_inv scope:SCOPE_SE
	v_mul_f32_e32 v69, v26, v21
	v_dual_mul_f32 v56, v27, v21 :: v_dual_mul_f32 v57, v41, v23
	v_dual_mul_f32 v58, v43, v17 :: v_dual_mul_f32 v59, v37, v19
	;; [unrolled: 1-line block ×10, first 2 shown]
	v_mul_f32_e32 v68, v40, v23
	v_dual_mul_f32 v76, v47, v5 :: v_dual_mul_f32 v77, v49, v7
	v_fmac_f32_e32 v69, v27, v20
	v_fma_f32 v70, v40, v22, -v57
	s_delay_alu instid0(VALU_DEP_4)
	v_dual_fmac_f32 v68, v41, v22 :: v_dual_fmac_f32 v67, v43, v16
	v_fmac_f32_e32 v66, v37, v18
	v_fma_f32 v40, v36, v18, -v59
	v_dual_fmac_f32 v63, v39, v12 :: v_dual_fmac_f32 v62, v33, v14
	v_fma_f32 v36, v32, v14, -v61
	v_fma_f32 v33, v34, v0, -v72
	v_dual_fmac_f32 v55, v35, v0 :: v_dual_fmac_f32 v54, v29, v2
	v_fma_f32 v29, v30, v8, -v74
	v_dual_fmac_f32 v53, v31, v8 :: v_dual_fmac_f32 v50, v49, v6
	v_dual_fmac_f32 v52, v45, v10 :: v_dual_fmac_f32 v51, v47, v4
	v_fma_f32 v71, v26, v20, -v56
	v_fma_f32 v41, v42, v16, -v58
	;; [unrolled: 1-line block ×6, first 2 shown]
	v_dual_sub_f32 v92, v69, v50 :: v_dual_sub_f32 v131, v68, v51
	v_dual_sub_f32 v140, v67, v52 :: v_dual_sub_f32 v91, v40, v29
	v_dual_sub_f32 v144, v36, v33 :: v_dual_add_f32 v47, v62, v55
	v_fma_f32 v37, v38, v12, -v60
	v_dual_add_f32 v30, v71, v26 :: v_dual_add_f32 v35, v68, v51
	v_dual_sub_f32 v81, v71, v26 :: v_dual_sub_f32 v84, v70, v27
	v_dual_add_f32 v38, v41, v28 :: v_dual_add_f32 v43, v66, v53
	s_delay_alu instid0(VALU_DEP_2) | instskip(SKIP_3) | instid1(VALU_DEP_3)
	v_dual_mul_f32 v79, 0xbeedf032, v92 :: v_dual_mul_f32 v82, 0xbeedf032, v81
	v_dual_mul_f32 v119, 0x3eedf032, v144 :: v_dual_mul_f32 v148, 0x3eedf032, v91
	v_dual_add_f32 v31, v69, v50 :: v_dual_add_f32 v34, v70, v27
	v_dual_sub_f32 v85, v41, v28 :: v_dual_add_f32 v46, v36, v33
	v_fma_f32 v185, 0x3f62ad3f, v43, -v148
	v_fmamk_f32 v56, v30, 0x3f62ad3f, v79
	v_mul_f32_e32 v129, 0xbf52af12, v81
	v_dual_mul_f32 v77, 0xbf52af12, v131 :: v_dual_mul_f32 v80, 0xbf52af12, v84
	v_dual_mul_f32 v75, 0xbf6f5d39, v91 :: v_dual_mul_f32 v120, 0xbf6f5d39, v84
	v_fma_f32 v57, 0x3f62ad3f, v31, -v82
	v_add_f32_e32 v56, v24, v56
	v_fma_f32 v168, 0x3f116cb1, v31, -v129
	v_dual_add_f32 v39, v67, v52 :: v_dual_add_f32 v42, v40, v29
	s_delay_alu instid0(VALU_DEP_4) | instskip(NEXT) | instid1(VALU_DEP_3)
	v_dual_mul_f32 v76, 0xbf7e222b, v140 :: v_dual_add_f32 v57, v25, v57
	v_dual_mul_f32 v147, 0x3f6f5d39, v85 :: v_dual_add_f32 v168, v25, v168
	v_dual_mul_f32 v160, 0xbf6f5d39, v92 :: v_dual_mul_f32 v161, 0xbf6f5d39, v81
	v_fma_f32 v59, 0x3f116cb1, v35, -v80
	v_fma_f32 v169, 0xbeb58ec6, v35, -v120
	v_mul_f32_e32 v78, 0xbf7e222b, v85
	v_dual_sub_f32 v141, v66, v53 :: v_dual_add_f32 v44, v37, v32
	v_dual_add_f32 v45, v63, v54 :: v_dual_sub_f32 v130, v37, v32
	v_dual_sub_f32 v143, v63, v54 :: v_dual_sub_f32 v132, v62, v55
	v_dual_mul_f32 v88, 0xbe750f2a, v140 :: v_dual_add_f32 v57, v59, v57
	v_dual_mul_f32 v159, 0x3f29c268, v131 :: v_dual_mul_f32 v162, 0x3f29c268, v84
	v_fma_f32 v192, 0xbeb58ec6, v31, -v161
	v_add_f32_e32 v59, v169, v168
	v_fma_f32 v61, 0x3df6dbef, v39, -v78
	v_dual_mul_f32 v49, 0xbf29c268, v143 :: v_dual_mul_f32 v74, 0xbf29c268, v130
	v_dual_mul_f32 v48, 0xbe750f2a, v132 :: v_dual_mul_f32 v93, 0xbe750f2a, v85
	s_delay_alu instid0(VALU_DEP_3)
	v_dual_mul_f32 v142, 0xbf7e222b, v92 :: v_dual_add_f32 v57, v61, v57
	v_dual_mul_f32 v149, 0xbf52af12, v130 :: v_dual_add_f32 v192, v25, v192
	v_fma_f32 v118, 0xbeb58ec6, v43, -v75
	v_fma_f32 v193, 0xbf3f9e67, v35, -v162
	v_mul_f32_e32 v152, 0xbf7e222b, v141
	v_dual_mul_f32 v89, 0x3f29c268, v141 :: v_dual_mul_f32 v94, 0x3f29c268, v91
	s_delay_alu instid0(VALU_DEP_4)
	v_dual_mul_f32 v154, 0x3f52af12, v132 :: v_dual_add_f32 v57, v118, v57
	v_fma_f32 v163, 0xbf3f9e67, v45, -v74
	v_fma_f32 v171, 0xbf788fa5, v39, -v93
	v_mul_f32_e32 v146, 0xbe750f2a, v84
	v_dual_add_f32 v169, v193, v192 :: v_dual_fmamk_f32 v196, v42, 0x3df6dbef, v152
	v_fmamk_f32 v58, v34, 0x3f116cb1, v77
	v_mul_f32_e32 v87, 0xbf52af12, v92
	v_dual_mul_f32 v90, 0x3f7e222b, v143 :: v_dual_mul_f32 v95, 0x3f7e222b, v130
	v_dual_mul_f32 v83, 0x3eedf032, v132 :: v_dual_mul_f32 v134, 0x3eedf032, v141
	s_delay_alu instid0(VALU_DEP_4) | instskip(SKIP_4) | instid1(VALU_DEP_4)
	v_dual_mul_f32 v155, 0x3eedf032, v85 :: v_dual_add_f32 v56, v58, v56
	v_dual_fmamk_f32 v60, v38, 0x3df6dbef, v76 :: v_dual_add_f32 v57, v163, v57
	v_mul_f32_e32 v157, 0x3e750f2a, v130
	v_fma_f32 v173, 0xbf3f9e67, v43, -v94
	v_fmamk_f32 v190, v30, 0xbeb58ec6, v160
	v_dual_add_f32 v56, v60, v56 :: v_dual_add_f32 v59, v171, v59
	v_fma_f32 v181, 0xbf788fa5, v35, -v146
	v_mul_f32_e32 v150, 0xbf7e222b, v81
	v_dual_mul_f32 v73, 0xbf6f5d39, v141 :: v_dual_mul_f32 v86, 0xbf6f5d39, v131
	v_dual_mul_f32 v145, 0xbf29c268, v144 :: v_dual_add_f32 v190, v24, v190
	v_dual_mul_f32 v158, 0x3f52af12, v144 :: v_dual_add_f32 v59, v173, v59
	v_fma_f32 v175, 0x3df6dbef, v45, -v95
	v_fma_f32 v180, 0x3df6dbef, v31, -v150
	v_fmamk_f32 v184, v42, 0x3f62ad3f, v134
	v_fmamk_f32 v191, v34, 0xbf3f9e67, v159
	v_fma_f32 v199, 0xbf788fa5, v45, -v157
	v_fmamk_f32 v166, v30, 0x3f116cb1, v87
	v_dual_mul_f32 v72, 0xbe750f2a, v144 :: v_dual_mul_f32 v139, 0xbe750f2a, v131
	v_dual_mul_f32 v137, 0xbf52af12, v143 :: v_dual_add_f32 v180, v25, v180
	v_dual_fmamk_f32 v117, v42, 0xbeb58ec6, v73 :: v_dual_add_f32 v168, v191, v190
	v_dual_fmamk_f32 v124, v44, 0xbf3f9e67, v49 :: v_dual_add_f32 v59, v175, v59
	s_delay_alu instid0(VALU_DEP_2) | instskip(SKIP_4) | instid1(VALU_DEP_4)
	v_dual_fmamk_f32 v167, v34, 0xbeb58ec6, v86 :: v_dual_add_f32 v56, v117, v56
	v_fma_f32 v177, 0x3f62ad3f, v47, -v119
	v_fmamk_f32 v178, v30, 0x3df6dbef, v142
	v_dual_add_f32 v166, v24, v166 :: v_dual_mul_f32 v133, 0x3f6f5d39, v140
	v_mul_f32_e32 v151, 0x3eedf032, v140
	v_dual_fmamk_f32 v172, v42, 0xbf3f9e67, v89 :: v_dual_add_f32 v59, v177, v59
	v_fmamk_f32 v179, v34, 0xbf788fa5, v139
	v_fma_f32 v183, 0xbeb58ec6, v39, -v147
	v_add_f32_e32 v178, v24, v178
	v_dual_add_f32 v58, v167, v166 :: v_dual_add_f32 v167, v181, v180
	v_mul_f32_e32 v138, 0xbf29c268, v132
	s_delay_alu instid0(VALU_DEP_3) | instskip(SKIP_1) | instid1(VALU_DEP_4)
	v_dual_mul_f32 v153, 0x3e750f2a, v143 :: v_dual_add_f32 v166, v179, v178
	v_fmamk_f32 v182, v38, 0xbeb58ec6, v133
	v_dual_fmamk_f32 v194, v38, 0x3f62ad3f, v151 :: v_dual_add_f32 v61, v183, v167
	v_fma_f32 v187, 0x3f116cb1, v45, -v149
	v_fma_f32 v195, 0x3f62ad3f, v39, -v155
	s_delay_alu instid0(VALU_DEP_4) | instskip(NEXT) | instid1(VALU_DEP_4)
	v_add_f32_e32 v60, v182, v166
	v_dual_add_f32 v166, v194, v168 :: v_dual_add_f32 v61, v185, v61
	s_delay_alu instid0(VALU_DEP_3) | instskip(SKIP_1) | instid1(VALU_DEP_3)
	v_dual_mul_f32 v156, 0xbf7e222b, v91 :: v_dual_add_f32 v167, v195, v169
	v_fmamk_f32 v164, v46, 0xbf788fa5, v48
	v_dual_fmamk_f32 v198, v44, 0xbf788fa5, v153 :: v_dual_add_f32 v61, v187, v61
	s_delay_alu instid0(VALU_DEP_4) | instskip(SKIP_4) | instid1(VALU_DEP_4)
	v_add_f32_e32 v117, v196, v166
	v_add_f32_e32 v56, v124, v56
	v_fmamk_f32 v170, v38, 0xbf788fa5, v88
	v_fma_f32 v197, 0x3df6dbef, v43, -v156
	v_fmamk_f32 v186, v44, 0x3f116cb1, v137
	v_dual_add_f32 v124, v198, v117 :: v_dual_add_f32 v117, v164, v56
	s_delay_alu instid0(VALU_DEP_4) | instskip(SKIP_4) | instid1(VALU_DEP_4)
	v_add_f32_e32 v58, v170, v58
	v_fma_f32 v189, 0xbf3f9e67, v47, -v145
	v_fmamk_f32 v174, v44, 0x3df6dbef, v90
	v_add_f32_e32 v60, v184, v60
	v_add_f32_e32 v118, v197, v167
	v_dual_add_f32 v58, v172, v58 :: v_dual_add_f32 v61, v189, v61
	v_fma_f32 v165, 0xbf788fa5, v47, -v72
	v_fmamk_f32 v188, v46, 0xbf3f9e67, v138
	v_fmamk_f32 v200, v46, 0x3f116cb1, v154
	v_fma_f32 v201, 0x3f116cb1, v47, -v158
	v_add_f32_e32 v58, v174, v58
	v_dual_add_f32 v60, v186, v60 :: v_dual_add_f32 v163, v199, v118
	v_fmamk_f32 v176, v46, 0x3f62ad3f, v83
	v_add_f32_e32 v118, v165, v57
	v_add_f32_e32 v56, v200, v124
	s_delay_alu instid0(VALU_DEP_4) | instskip(NEXT) | instid1(VALU_DEP_4)
	v_dual_add_f32 v60, v188, v60 :: v_dual_add_f32 v57, v201, v163
	v_add_f32_e32 v58, v176, v58
	v_lshrrev_b32_e32 v124, 1, v121
	s_and_saveexec_b32 s1, s0
	s_cbranch_execz .LBB0_5
; %bb.4:
	v_mul_f32_e32 v196, 0xbf29c268, v92
	v_mul_f32_e32 v182, 0xbf3f9e67, v31
	v_dual_mul_f32 v200, 0x3f7e222b, v131 :: v_dual_mul_f32 v215, 0x3f7e222b, v132
	v_dual_mul_f32 v203, 0xbe750f2a, v81 :: v_dual_mul_f32 v204, 0xbe750f2a, v92
	s_delay_alu instid0(VALU_DEP_4) | instskip(SKIP_3) | instid1(VALU_DEP_4)
	v_fmamk_f32 v199, v30, 0xbf3f9e67, v196
	v_mul_f32_e32 v205, 0xbf52af12, v140
	v_mul_f32_e32 v210, 0xbf29c268, v140
	v_dual_mul_f32 v212, 0xbf6f5d39, v130 :: v_dual_mul_f32 v213, 0xbf6f5d39, v143
	v_dual_add_f32 v199, v24, v199 :: v_dual_fmamk_f32 v202, v34, 0x3df6dbef, v200
	v_mul_f32_e32 v181, 0xbf788fa5, v38
	v_fma_f32 v206, 0xbf788fa5, v30, -v204
	v_mul_f32_e32 v131, 0x3eedf032, v131
	v_mul_f32_e32 v214, 0x3f7e222b, v144
	v_dual_add_f32 v92, v202, v199 :: v_dual_fmamk_f32 v199, v31, 0xbf788fa5, v203
	v_mul_f32_e32 v202, 0x3eedf032, v84
	v_mul_f32_e32 v208, 0xbf29c268, v85
	;; [unrolled: 1-line block ×3, first 2 shown]
	v_dual_mul_f32 v183, 0xbf788fa5, v39 :: v_dual_add_f32 v206, v24, v206
	v_add_f32_e32 v199, v25, v199
	v_fmamk_f32 v207, v35, 0x3f62ad3f, v202
	v_fmamk_f32 v187, v81, 0x3f29c268, v182
	v_fmac_f32_e32 v182, 0xbf29c268, v81
	v_fma_f32 v209, 0x3f62ad3f, v34, -v131
	v_mul_f32_e32 v193, 0x3f116cb1, v39
	v_add_f32_e32 v140, v207, v199
	v_fmamk_f32 v199, v39, 0xbf3f9e67, v208
	s_delay_alu instid0(VALU_DEP_4) | instskip(SKIP_2) | instid1(VALU_DEP_4)
	v_dual_mul_f32 v197, 0xbf788fa5, v43 :: v_dual_add_f32 v206, v209, v206
	v_fma_f32 v209, 0xbf3f9e67, v38, -v210
	v_add_f32_e32 v182, v25, v182
	v_dual_add_f32 v140, v199, v140 :: v_dual_mul_f32 v207, 0x3f52af12, v91
	v_mul_f32_e32 v201, 0x3f62ad3f, v43
	v_dual_mul_f32 v169, 0xbeb58ec6, v30 :: v_dual_mul_f32 v170, 0xbeb58ec6, v31
	v_dual_mul_f32 v177, 0xbf3f9e67, v34 :: v_dual_mul_f32 v178, 0xbf3f9e67, v35
	s_delay_alu instid0(VALU_DEP_4) | instskip(SKIP_3) | instid1(VALU_DEP_4)
	v_fmamk_f32 v199, v43, 0x3f116cb1, v207
	v_dual_mul_f32 v167, 0x3df6dbef, v30 :: v_dual_mul_f32 v168, 0x3df6dbef, v31
	v_mul_f32_e32 v217, 0x3e750f2a, v141
	v_dual_mul_f32 v186, 0x3f62ad3f, v38 :: v_dual_mul_f32 v189, 0x3f62ad3f, v39
	v_dual_add_f32 v140, v199, v140 :: v_dual_fmamk_f32 v199, v45, 0xbeb58ec6, v212
	v_dual_mul_f32 v211, 0x3f52af12, v141 :: v_dual_add_f32 v162, v162, v178
	v_mul_f32_e32 v132, 0xbf6f5d39, v132
	v_dual_mul_f32 v175, 0xbf788fa5, v34 :: v_dual_mul_f32 v176, 0xbf788fa5, v35
	s_delay_alu instid0(VALU_DEP_4)
	v_add_f32_e32 v140, v199, v140
	v_fmamk_f32 v199, v47, 0x3df6dbef, v214
	v_dual_add_f32 v187, v25, v187 :: v_dual_fmamk_f32 v192, v84, 0xbf7e222b, v188
	v_add_f32_e32 v206, v209, v206
	v_fma_f32 v209, 0x3f116cb1, v42, -v211
	v_dual_mul_f32 v184, 0xbeb58ec6, v38 :: v_dual_mul_f32 v185, 0xbeb58ec6, v39
	s_delay_alu instid0(VALU_DEP_4) | instskip(SKIP_1) | instid1(VALU_DEP_4)
	v_dual_add_f32 v187, v192, v187 :: v_dual_fmamk_f32 v192, v85, 0x3f52af12, v193
	v_mul_f32_e32 v198, 0x3f62ad3f, v42
	v_add_f32_e32 v206, v209, v206
	v_fma_f32 v209, 0xbeb58ec6, v44, -v213
	v_fmac_f32_e32 v193, 0xbf52af12, v85
	v_dual_add_f32 v187, v192, v187 :: v_dual_fmamk_f32 v192, v91, 0xbe750f2a, v197
	s_delay_alu instid0(VALU_DEP_3) | instskip(SKIP_2) | instid1(VALU_DEP_4)
	v_dual_add_f32 v141, v199, v140 :: v_dual_add_f32 v206, v209, v206
	v_fmamk_f32 v216, v38, 0x3f116cb1, v205
	v_fmac_f32_e32 v197, 0x3e750f2a, v91
	v_dual_add_f32 v187, v192, v187 :: v_dual_mul_f32 v192, 0x3f62ad3f, v45
	v_fmac_f32_e32 v188, 0x3f7e222b, v84
	s_delay_alu instid0(VALU_DEP_4) | instskip(SKIP_1) | instid1(VALU_DEP_4)
	v_dual_add_f32 v92, v216, v92 :: v_dual_mul_f32 v143, 0x3eedf032, v143
	v_fma_f32 v84, 0xbf3f9e67, v30, -v196
	v_fmamk_f32 v216, v130, 0xbeedf032, v192
	v_fma_f32 v209, 0x3df6dbef, v46, -v215
	v_dual_mul_f32 v178, 0x3f116cb1, v46 :: v_dual_add_f32 v155, v155, v189
	v_fmamk_f32 v81, v44, 0x3f62ad3f, v143
	v_fmamk_f32 v199, v42, 0xbf788fa5, v217
	v_dual_add_f32 v187, v216, v187 :: v_dual_fmac_f32 v192, 0x3eedf032, v130
	v_dual_add_f32 v161, v161, v170 :: v_dual_mul_f32 v130, 0xbeb58ec6, v47
	s_delay_alu instid0(VALU_DEP_3) | instskip(SKIP_2) | instid1(VALU_DEP_4)
	v_add_f32_e32 v92, v199, v92
	v_add_f32_e32 v140, v209, v206
	v_dual_mul_f32 v206, 0x3df6dbef, v42 :: v_dual_mul_f32 v209, 0x3df6dbef, v43
	v_add_f32_e32 v161, v25, v161
	s_delay_alu instid0(VALU_DEP_4)
	v_add_f32_e32 v216, v81, v92
	v_add_f32_e32 v81, v24, v84
	v_fma_f32 v84, 0x3df6dbef, v34, -v200
	v_add_f32_e32 v92, v188, v182
	v_mul_f32_e32 v182, 0x3df6dbef, v45
	v_sub_f32_e32 v160, v169, v160
	s_delay_alu instid0(VALU_DEP_4) | instskip(SKIP_4) | instid1(VALU_DEP_4)
	v_dual_mul_f32 v170, 0xbf3f9e67, v47 :: v_dual_add_f32 v81, v84, v81
	v_fma_f32 v84, 0x3f116cb1, v38, -v205
	v_add_f32_e32 v85, v193, v92
	v_dual_mul_f32 v193, 0xbf788fa5, v46 :: v_dual_add_f32 v150, v150, v168
	v_dual_add_f32 v146, v146, v176 :: v_dual_add_f32 v147, v147, v185
	v_add_f32_e32 v81, v84, v81
	v_fma_f32 v84, 0xbf788fa5, v42, -v217
	v_mul_f32_e32 v218, 0x3df6dbef, v44
	v_add_f32_e32 v150, v25, v150
	v_dual_mul_f32 v200, 0x3f116cb1, v45 :: v_dual_mul_f32 v169, 0x3f116cb1, v47
	s_delay_alu instid0(VALU_DEP_4) | instskip(SKIP_4) | instid1(VALU_DEP_4)
	v_add_f32_e32 v81, v84, v81
	v_fma_f32 v84, 0x3f62ad3f, v44, -v143
	v_fmamk_f32 v143, v144, 0x3f6f5d39, v130
	v_fmac_f32_e32 v130, 0xbf6f5d39, v144
	v_dual_mul_f32 v92, 0xbf788fa5, v44 :: v_dual_mul_f32 v91, 0xbf788fa5, v45
	v_add_f32_e32 v84, v84, v81
	v_add_f32_e32 v85, v197, v85
	v_dual_add_f32 v81, v143, v187 :: v_dual_mul_f32 v188, 0x3f116cb1, v44
	v_mul_f32_e32 v197, 0xbf788fa5, v47
	v_sub_f32_e32 v143, v177, v159
	s_delay_alu instid0(VALU_DEP_4) | instskip(SKIP_2) | instid1(VALU_DEP_3)
	v_dual_add_f32 v85, v192, v85 :: v_dual_mul_f32 v192, 0xbf3f9e67, v46
	v_dual_mul_f32 v165, 0x3f116cb1, v30 :: v_dual_mul_f32 v166, 0x3f116cb1, v31
	v_dual_mul_f32 v173, 0xbeb58ec6, v34 :: v_dual_mul_f32 v174, 0xbeb58ec6, v35
	v_dual_add_f32 v85, v130, v85 :: v_dual_add_f32 v130, v24, v160
	v_add_f32_e32 v91, v157, v91
	v_dual_sub_f32 v139, v175, v139 :: v_dual_mul_f32 v194, 0xbf3f9e67, v42
	s_delay_alu instid0(VALU_DEP_3) | instskip(SKIP_4) | instid1(VALU_DEP_3)
	v_dual_mul_f32 v195, 0xbf3f9e67, v43 :: v_dual_add_f32 v130, v143, v130
	v_sub_f32_e32 v143, v186, v151
	v_fma_f32 v159, 0xbeb58ec6, v46, -v132
	v_mul_f32_e32 v205, 0x3f62ad3f, v46
	v_dual_sub_f32 v87, v165, v87 :: v_dual_sub_f32 v142, v167, v142
	v_dual_sub_f32 v133, v184, v133 :: v_dual_add_f32 v84, v159, v84
	v_add_f32_e32 v159, v162, v161
	v_fmamk_f32 v132, v46, 0xbeb58ec6, v132
	v_sub_f32_e32 v86, v173, v86
	v_dual_mul_f32 v163, 0x3f62ad3f, v30 :: v_dual_mul_f32 v164, 0x3f62ad3f, v31
	s_delay_alu instid0(VALU_DEP_4) | instskip(SKIP_4) | instid1(VALU_DEP_4)
	v_add_f32_e32 v151, v155, v159
	v_dual_add_f32 v155, v156, v209 :: v_dual_add_f32 v130, v143, v130
	v_sub_f32_e32 v143, v206, v152
	v_add_f32_e32 v146, v146, v150
	v_sub_f32_e32 v92, v92, v153
	v_add_f32_e32 v150, v155, v151
	s_delay_alu instid0(VALU_DEP_4) | instskip(NEXT) | instid1(VALU_DEP_4)
	v_dual_add_f32 v93, v93, v183 :: v_dual_add_f32 v130, v143, v130
	v_add_f32_e32 v143, v147, v146
	v_add_f32_e32 v147, v158, v169
	s_delay_alu instid0(VALU_DEP_4) | instskip(SKIP_3) | instid1(VALU_DEP_4)
	v_dual_add_f32 v146, v148, v201 :: v_dual_add_f32 v91, v91, v150
	v_sub_f32_e32 v148, v178, v154
	v_add_f32_e32 v94, v94, v195
	v_add_f32_e32 v87, v24, v87
	;; [unrolled: 1-line block ×6, first 2 shown]
	v_mul_f32_e32 v144, 0x3f62ad3f, v47
	v_dual_mul_f32 v171, 0x3f116cb1, v34 :: v_dual_mul_f32 v172, 0x3f116cb1, v35
	v_add_f32_e32 v129, v25, v129
	v_dual_add_f32 v146, v149, v200 :: v_dual_add_f32 v91, v148, v130
	v_dual_sub_f32 v90, v218, v90 :: v_dual_add_f32 v69, v25, v69
	v_dual_add_f32 v82, v82, v164 :: v_dual_sub_f32 v79, v163, v79
	s_delay_alu instid0(VALU_DEP_3) | instskip(SKIP_3) | instid1(VALU_DEP_3)
	v_dual_add_f32 v130, v146, v143 :: v_dual_add_f32 v143, v145, v170
	v_add_f32_e32 v145, v120, v174
	v_add_f32_e32 v142, v24, v142
	v_dual_mul_f32 v179, 0x3df6dbef, v38 :: v_dual_mul_f32 v180, 0x3df6dbef, v39
	v_dual_add_f32 v120, v143, v130 :: v_dual_add_f32 v129, v145, v129
	s_delay_alu instid0(VALU_DEP_3) | instskip(SKIP_2) | instid1(VALU_DEP_4)
	v_add_f32_e32 v130, v139, v142
	v_add_f32_e32 v82, v25, v82
	v_dual_add_f32 v80, v80, v172 :: v_dual_sub_f32 v77, v171, v77
	v_add_f32_e32 v93, v93, v129
	v_dual_sub_f32 v129, v188, v137 :: v_dual_add_f32 v86, v86, v87
	v_add_f32_e32 v130, v133, v130
	v_sub_f32_e32 v133, v198, v134
	v_sub_f32_e32 v87, v181, v88
	v_dual_add_f32 v93, v94, v93 :: v_dual_add_f32 v94, v95, v182
	v_dual_add_f32 v68, v69, v68 :: v_dual_add_f32 v79, v24, v79
	s_delay_alu instid0(VALU_DEP_4) | instskip(NEXT) | instid1(VALU_DEP_3)
	v_add_f32_e32 v88, v133, v130
	v_dual_add_f32 v86, v87, v86 :: v_dual_add_f32 v93, v94, v93
	v_sub_f32_e32 v87, v194, v89
	v_dual_sub_f32 v89, v192, v138 :: v_dual_add_f32 v94, v119, v144
	s_delay_alu instid0(VALU_DEP_4) | instskip(SKIP_1) | instid1(VALU_DEP_3)
	v_add_f32_e32 v88, v129, v88
	v_dual_add_f32 v80, v80, v82 :: v_dual_add_f32 v77, v77, v79
	v_dual_add_f32 v86, v87, v86 :: v_dual_add_f32 v87, v94, v93
	;; [unrolled: 1-line block ×3, first 2 shown]
	v_dual_add_f32 v71, v24, v71 :: v_dual_sub_f32 v76, v179, v76
	v_dual_mul_f32 v190, 0xbeb58ec6, v42 :: v_dual_mul_f32 v191, 0xbeb58ec6, v43
	s_delay_alu instid0(VALU_DEP_3) | instskip(NEXT) | instid1(VALU_DEP_3)
	v_dual_add_f32 v66, v67, v66 :: v_dual_add_f32 v67, v68, v80
	v_dual_add_f32 v68, v71, v70 :: v_dual_add_f32 v71, v76, v77
	v_dual_mul_f32 v199, 0xbf3f9e67, v44 :: v_dual_mul_f32 v196, 0xbf3f9e67, v45
	s_delay_alu instid0(VALU_DEP_2) | instskip(NEXT) | instid1(VALU_DEP_4)
	v_dual_add_f32 v70, v75, v191 :: v_dual_add_f32 v41, v68, v41
	v_add_f32_e32 v63, v66, v63
	v_fma_f32 v31, 0xbf788fa5, v31, -v203
	s_delay_alu instid0(VALU_DEP_4) | instskip(NEXT) | instid1(VALU_DEP_4)
	v_dual_add_f32 v68, v74, v196 :: v_dual_fmac_f32 v131, 0x3f62ad3f, v34
	v_dual_add_f32 v40, v41, v40 :: v_dual_sub_f32 v41, v199, v49
	s_delay_alu instid0(VALU_DEP_4) | instskip(SKIP_1) | instid1(VALU_DEP_3)
	v_dual_add_f32 v67, v70, v67 :: v_dual_add_f32 v62, v63, v62
	v_sub_f32_e32 v66, v190, v73
	v_dual_add_f32 v40, v40, v37 :: v_dual_add_f32 v25, v25, v31
	s_delay_alu instid0(VALU_DEP_3) | instskip(NEXT) | instid1(VALU_DEP_4)
	v_add_f32_e32 v49, v68, v67
	v_add_f32_e32 v55, v62, v55
	s_delay_alu instid0(VALU_DEP_4) | instskip(SKIP_2) | instid1(VALU_DEP_3)
	v_dual_add_f32 v63, v66, v71 :: v_dual_add_f32 v62, v72, v197
	v_sub_f32_e32 v48, v193, v48
	v_fma_f32 v31, 0x3f62ad3f, v35, -v202
	v_dual_add_f32 v54, v55, v54 :: v_dual_add_f32 v41, v41, v63
	s_delay_alu instid0(VALU_DEP_4) | instskip(NEXT) | instid1(VALU_DEP_3)
	v_dual_add_f32 v40, v40, v36 :: v_dual_add_f32 v37, v62, v49
	v_add_f32_e32 v25, v31, v25
	v_fma_f32 v31, 0xbf3f9e67, v39, -v208
	s_delay_alu instid0(VALU_DEP_4) | instskip(SKIP_3) | instid1(VALU_DEP_3)
	v_add_f32_e32 v36, v48, v41
	v_dual_add_f32 v41, v54, v53 :: v_dual_fmac_f32 v204, 0xbf788fa5, v30
	v_dual_add_f32 v30, v40, v33 :: v_dual_fmac_f32 v215, 0x3df6dbef, v46
	v_fmac_f32_e32 v211, 0x3f116cb1, v42
	v_add_f32_e32 v33, v41, v52
	s_delay_alu instid0(VALU_DEP_4) | instskip(NEXT) | instid1(VALU_DEP_4)
	v_add_f32_e32 v24, v24, v204
	v_add_f32_e32 v30, v30, v32
	v_fmac_f32_e32 v213, 0xbeb58ec6, v44
	v_add_f32_e32 v119, v89, v88
	v_add_f32_e32 v32, v33, v51
	s_delay_alu instid0(VALU_DEP_4) | instskip(SKIP_3) | instid1(VALU_DEP_4)
	v_dual_add_f32 v24, v131, v24 :: v_dual_add_f32 v29, v30, v29
	v_add_f32_e32 v30, v31, v25
	v_fma_f32 v31, 0x3f116cb1, v43, -v207
	v_dual_add_f32 v86, v90, v86 :: v_dual_sub_f32 v69, v205, v83
	v_add_f32_e32 v28, v29, v28
	v_fmac_f32_e32 v210, 0xbf3f9e67, v38
	s_delay_alu instid0(VALU_DEP_4) | instskip(SKIP_2) | instid1(VALU_DEP_4)
	v_add_f32_e32 v29, v31, v30
	v_fma_f32 v30, 0xbeb58ec6, v45, -v212
	v_mul_u32_u24_e32 v31, 26, v124
	v_dual_add_f32 v27, v28, v27 :: v_dual_add_f32 v24, v210, v24
	s_delay_alu instid0(VALU_DEP_3) | instskip(NEXT) | instid1(VALU_DEP_3)
	v_dual_add_f32 v25, v32, v50 :: v_dual_add_f32 v28, v30, v29
	v_or_b32_e32 v29, v31, v123
	v_fma_f32 v30, 0x3df6dbef, v47, -v214
	s_delay_alu instid0(VALU_DEP_4) | instskip(SKIP_1) | instid1(VALU_DEP_4)
	v_add_f32_e32 v24, v211, v24
	v_add_f32_e32 v86, v69, v86
	v_dual_add_f32 v80, v132, v216 :: v_dual_lshlrev_b32 v29, 3, v29
	s_delay_alu instid0(VALU_DEP_3) | instskip(NEXT) | instid1(VALU_DEP_1)
	v_dual_add_f32 v31, v213, v24 :: v_dual_add_f32 v24, v27, v26
	v_dual_add_f32 v27, v30, v28 :: v_dual_add_f32 v26, v215, v31
	ds_store_2addr_b64 v29, v[24:25], v[36:37] offset1:2
	ds_store_2addr_b64 v29, v[86:87], v[119:120] offset0:4 offset1:6
	ds_store_2addr_b64 v29, v[91:92], v[84:85] offset0:8 offset1:10
	ds_store_2addr_b64 v29, v[140:141], v[26:27] offset0:12 offset1:14
	ds_store_2addr_b64 v29, v[80:81], v[56:57] offset0:16 offset1:18
	ds_store_2addr_b64 v29, v[60:61], v[58:59] offset0:20 offset1:22
	ds_store_b64 v29, v[117:118] offset:192
.LBB0_5:
	s_wait_alu 0xfffe
	s_or_b32 exec_lo, exec_lo, s1
	v_add_nc_u32_e32 v24, 0x600, v122
	v_add_nc_u32_e32 v25, 0x1800, v122
	;; [unrolled: 1-line block ×3, first 2 shown]
	global_wb scope:SCOPE_SE
	s_wait_dscnt 0x0
	s_barrier_signal -1
	s_barrier_wait -1
	global_inv scope:SCOPE_SE
	ds_load_2addr_b64 v[44:47], v122 offset1:117
	ds_load_2addr_b64 v[40:43], v24 offset0:42 offset1:198
	ds_load_2addr_b64 v[52:55], v25 offset0:12 offset1:129
	;; [unrolled: 1-line block ×3, first 2 shown]
	ds_load_b64 v[62:63], v122 offset:8112
	v_cmp_gt_u16_e32 vcc_lo, 39, v121
	s_and_saveexec_b32 s1, vcc_lo
	s_cbranch_execz .LBB0_7
; %bb.6:
	ds_load_b64 v[56:57], v122 offset:2808
	ds_load_b64 v[60:61], v122 offset:5928
	;; [unrolled: 1-line block ×3, first 2 shown]
.LBB0_7:
	s_wait_alu 0xfffe
	s_or_b32 exec_lo, exec_lo, s1
	v_and_b32_e32 v24, 0xff, v121
	v_and_b32_e32 v25, 0xff, v64
	;; [unrolled: 1-line block ×3, first 2 shown]
	s_delay_alu instid0(VALU_DEP_3) | instskip(NEXT) | instid1(VALU_DEP_3)
	v_mul_lo_u16 v24, 0x4f, v24
	v_mul_lo_u16 v25, 0x4f, v25
	s_delay_alu instid0(VALU_DEP_3) | instskip(NEXT) | instid1(VALU_DEP_3)
	v_mul_u32_u24_e32 v26, 0x4ec5, v26
	v_lshrrev_b16 v66, 11, v24
	v_and_b32_e32 v24, 0xffff, v135
	s_delay_alu instid0(VALU_DEP_4) | instskip(NEXT) | instid1(VALU_DEP_4)
	v_lshrrev_b16 v67, 11, v25
	v_lshrrev_b32_e32 v68, 19, v26
	s_delay_alu instid0(VALU_DEP_4) | instskip(NEXT) | instid1(VALU_DEP_4)
	v_mul_lo_u16 v25, v66, 26
	v_mul_u32_u24_e32 v24, 0x4ec5, v24
	s_delay_alu instid0(VALU_DEP_4) | instskip(NEXT) | instid1(VALU_DEP_3)
	v_mul_lo_u16 v26, v67, 26
	v_sub_nc_u16 v25, v121, v25
	s_delay_alu instid0(VALU_DEP_3) | instskip(SKIP_1) | instid1(VALU_DEP_4)
	v_lshrrev_b32_e32 v69, 19, v24
	v_mul_lo_u16 v24, v68, 26
	v_sub_nc_u16 v26, v64, v26
	s_delay_alu instid0(VALU_DEP_4) | instskip(NEXT) | instid1(VALU_DEP_4)
	v_and_b32_e32 v70, 0xff, v25
	v_mul_lo_u16 v25, v69, 26
	s_delay_alu instid0(VALU_DEP_4) | instskip(NEXT) | instid1(VALU_DEP_3)
	v_sub_nc_u16 v65, v65, v24
	v_lshlrev_b32_e32 v24, 4, v70
	s_delay_alu instid0(VALU_DEP_3) | instskip(NEXT) | instid1(VALU_DEP_3)
	v_sub_nc_u16 v72, v135, v25
	v_lshlrev_b16 v25, 4, v65
	v_mad_u16 v65, 0x4e, v68, v65
	global_load_b128 v[36:39], v24, s[10:11] offset:192
	v_and_b32_e32 v71, 0xff, v26
	v_mad_u16 v129, 0x4e, v69, v72
	s_delay_alu instid0(VALU_DEP_2)
	v_lshlrev_b32_e32 v26, 4, v71
	global_load_b128 v[32:35], v26, s[10:11] offset:192
	v_lshlrev_b16 v24, 4, v72
	v_and_b32_e32 v25, 0xffff, v25
	v_and_b32_e32 v73, 0xffff, v66
	;; [unrolled: 1-line block ×3, first 2 shown]
	s_delay_alu instid0(VALU_DEP_4) | instskip(NEXT) | instid1(VALU_DEP_2)
	v_and_b32_e32 v26, 0xffff, v24
	v_mul_u32_u24_e32 v67, 0x4e, v67
	s_delay_alu instid0(VALU_DEP_1) | instskip(SKIP_4) | instid1(VALU_DEP_2)
	v_add_lshl_u32 v131, v67, v71, 3
	s_wait_loadcnt_dscnt 0x103
	v_mul_f32_e32 v67, v43, v37
	s_wait_dscnt 0x2
	v_mul_f32_e32 v69, v53, v39
	v_fma_f32 v67, v42, v36, -v67
	s_wait_loadcnt 0x0
	v_mul_f32_e32 v74, v54, v35
	v_add_co_u32 v24, s1, s10, v25
	s_wait_alu 0xf1ff
	v_add_co_ci_u32_e64 v25, null, s11, 0, s1
	v_add_co_u32 v26, s1, s10, v26
	s_wait_alu 0xf1ff
	v_add_co_ci_u32_e64 v27, null, s11, 0, s1
	s_clause 0x1
	global_load_b128 v[28:31], v[24:25], off offset:192
	global_load_b128 v[24:27], v[26:27], off offset:192
	s_wait_dscnt 0x1
	v_mul_f32_e32 v72, v48, v33
	v_mul_u32_u24_e32 v68, 0x4e, v73
	v_mul_f32_e32 v71, v49, v33
	v_lshlrev_b32_e32 v66, 1, v121
	global_wb scope:SCOPE_SE
	s_wait_loadcnt_dscnt 0x0
	v_fmac_f32_e32 v72, v49, v32
	s_barrier_signal -1
	s_barrier_wait -1
	global_inv scope:SCOPE_SE
	v_fmac_f32_e32 v74, v55, v34
	v_mul_f32_e32 v49, v63, v31
	v_add_lshl_u32 v132, v68, v70, 3
	v_dual_mul_f32 v70, v52, v39 :: v_dual_and_b32 v73, 0xffff, v65
	v_dual_mul_f32 v68, v42, v37 :: v_dual_lshlrev_b32 v65, 1, v64
	v_fma_f32 v52, v52, v38, -v69
	s_delay_alu instid0(VALU_DEP_3) | instskip(NEXT) | instid1(VALU_DEP_4)
	v_fmac_f32_e32 v70, v53, v38
	v_dual_mul_f32 v73, v55, v35 :: v_dual_lshlrev_b32 v130, 3, v73
	s_delay_alu instid0(VALU_DEP_4)
	v_fmac_f32_e32 v68, v43, v36
	v_fma_f32 v53, v48, v32, -v71
	v_mul_f32_e32 v55, v50, v29
	v_mul_f32_e32 v69, v62, v31
	v_fma_f32 v54, v54, v34, -v73
	v_dual_mul_f32 v71, v61, v25 :: v_dual_mul_f32 v42, v58, v27
	v_mul_f32_e32 v43, v60, v25
	v_mul_f32_e32 v48, v51, v29
	v_mul_f32_e32 v73, v59, v27
	v_fmac_f32_e32 v55, v51, v28
	v_fma_f32 v62, v62, v30, -v49
	v_fmac_f32_e32 v43, v61, v24
	v_fma_f32 v75, v50, v28, -v48
	v_dual_fmac_f32 v69, v63, v30 :: v_dual_add_f32 v50, v44, v67
	v_fma_f32 v49, v60, v24, -v71
	v_fma_f32 v48, v58, v26, -v73
	v_dual_fmac_f32 v42, v59, v26 :: v_dual_add_f32 v59, v45, v68
	v_dual_add_f32 v51, v67, v52 :: v_dual_sub_f32 v58, v68, v70
	v_dual_add_f32 v60, v68, v70 :: v_dual_sub_f32 v61, v67, v52
	v_dual_add_f32 v67, v53, v54 :: v_dual_add_f32 v50, v50, v52
	v_add_f32_e32 v71, v47, v72
	v_dual_add_f32 v63, v46, v53 :: v_dual_sub_f32 v68, v72, v74
	v_add_f32_e32 v72, v72, v74
	v_sub_f32_e32 v73, v53, v54
	v_fma_f32 v44, -0.5, v51, v44
	v_fma_f32 v46, -0.5, v67, v46
	v_dual_add_f32 v53, v71, v74 :: v_dual_add_f32 v74, v49, v48
	v_add_f32_e32 v71, v55, v69
	v_add_f32_e32 v77, v43, v42
	v_dual_add_f32 v52, v63, v54 :: v_dual_fmac_f32 v47, -0.5, v72
	v_dual_add_f32 v63, v75, v62 :: v_dual_sub_f32 v78, v49, v48
	v_dual_add_f32 v51, v59, v70 :: v_dual_add_f32 v70, v41, v55
	v_fma_f32 v45, -0.5, v60, v45
	v_dual_add_f32 v60, v40, v75 :: v_dual_sub_f32 v67, v55, v69
	v_fmamk_f32 v54, v58, 0x3f5db3d7, v44
	s_delay_alu instid0(VALU_DEP_3)
	v_dual_sub_f32 v72, v75, v62 :: v_dual_fmamk_f32 v55, v61, 0xbf5db3d7, v45
	v_sub_f32_e32 v75, v43, v42
	v_fmac_f32_e32 v44, 0xbf5db3d7, v58
	v_fmamk_f32 v58, v68, 0x3f5db3d7, v46
	v_dual_fmac_f32 v46, 0xbf5db3d7, v68 :: v_dual_fmac_f32 v41, -0.5, v71
	v_fma_f32 v76, -0.5, v74, v56
	v_fma_f32 v77, -0.5, v77, v57
	;; [unrolled: 1-line block ×3, first 2 shown]
	v_dual_fmac_f32 v45, 0x3f5db3d7, v61 :: v_dual_add_f32 v60, v60, v62
	s_delay_alu instid0(VALU_DEP_4)
	v_dual_add_f32 v61, v70, v69 :: v_dual_fmamk_f32 v90, v75, 0x3f5db3d7, v76
	v_dual_fmamk_f32 v63, v72, 0xbf5db3d7, v41 :: v_dual_fmac_f32 v76, 0xbf5db3d7, v75
	v_fmamk_f32 v91, v78, 0xbf5db3d7, v77
	v_fmac_f32_e32 v77, 0x3f5db3d7, v78
	v_fmamk_f32 v59, v73, 0xbf5db3d7, v47
	v_dual_fmac_f32 v47, 0x3f5db3d7, v73 :: v_dual_fmamk_f32 v62, v67, 0x3f5db3d7, v40
	v_fmac_f32_e32 v40, 0xbf5db3d7, v67
	v_fmac_f32_e32 v41, 0x3f5db3d7, v72
	ds_store_2addr_b64 v132, v[50:51], v[54:55] offset1:26
	ds_store_b64 v132, v[44:45] offset:416
	ds_store_2addr_b64 v131, v[52:53], v[58:59] offset1:26
	ds_store_b64 v131, v[46:47] offset:416
	;; [unrolled: 2-line block ×3, first 2 shown]
	s_and_saveexec_b32 s1, vcc_lo
	s_cbranch_execz .LBB0_9
; %bb.8:
	v_dual_add_f32 v40, v57, v43 :: v_dual_add_f32 v43, v56, v49
	s_delay_alu instid0(VALU_DEP_1) | instskip(NEXT) | instid1(VALU_DEP_2)
	v_dual_add_f32 v41, v40, v42 :: v_dual_and_b32 v44, 0xffff, v129
	v_add_f32_e32 v40, v43, v48
	s_delay_alu instid0(VALU_DEP_2)
	v_lshlrev_b32_e32 v42, 3, v44
	ds_store_2addr_b64 v42, v[40:41], v[90:91] offset1:26
	ds_store_b64 v42, v[76:77] offset:416
.LBB0_9:
	s_wait_alu 0xfffe
	s_or_b32 exec_lo, exec_lo, s1
	v_add_co_u32 v40, s1, 0xffffffb2, v121
	s_wait_alu 0xf1ff
	v_add_co_ci_u32_e64 v41, null, 0, -1, s1
	v_cmp_gt_u16_e64 s1, 0x4e, v121
	global_wb scope:SCOPE_SE
	s_wait_dscnt 0x0
	s_barrier_signal -1
	s_barrier_wait -1
	global_inv scope:SCOPE_SE
	s_wait_alu 0xf1ff
	v_cndmask_b32_e64 v83, v41, 0, s1
	v_cndmask_b32_e64 v82, v40, v121, s1
	s_delay_alu instid0(VALU_DEP_1) | instskip(NEXT) | instid1(VALU_DEP_1)
	v_lshlrev_b64_e32 v[40:41], 5, v[82:83]
	v_add_co_u32 v40, s1, s10, v40
	s_wait_alu 0xf1ff
	s_delay_alu instid0(VALU_DEP_2)
	v_add_co_ci_u32_e64 v41, s1, s11, v41, s1
	s_clause 0x1
	global_load_b128 v[48:51], v[40:41], off offset:608
	global_load_b128 v[44:47], v[40:41], off offset:624
	v_lshrrev_b16 v40, 1, v64
	v_add_nc_u32_e32 v52, 0x400, v122
	v_add_nc_u32_e32 v67, 0x1400, v122
	v_cmp_lt_u16_e64 s1, 0x4d, v121
	s_delay_alu instid0(VALU_DEP_4) | instskip(SKIP_1) | instid1(VALU_DEP_2)
	v_and_b32_e32 v40, 0x7f, v40
	s_wait_alu 0xf1ff
	v_cndmask_b32_e64 v83, 0, 0x186, s1
	s_delay_alu instid0(VALU_DEP_2) | instskip(NEXT) | instid1(VALU_DEP_2)
	v_mul_lo_u16 v40, 0xd3, v40
	v_add_lshl_u32 v134, v82, v83, 3
	s_delay_alu instid0(VALU_DEP_2) | instskip(NEXT) | instid1(VALU_DEP_1)
	v_lshrrev_b16 v71, 13, v40
	v_mul_lo_u16 v40, 0x4e, v71
	s_delay_alu instid0(VALU_DEP_1) | instskip(NEXT) | instid1(VALU_DEP_1)
	v_sub_nc_u16 v40, v64, v40
	v_and_b32_e32 v64, 0xff, v40
	s_delay_alu instid0(VALU_DEP_1)
	v_lshlrev_b32_e32 v40, 5, v64
	s_clause 0x1
	global_load_b128 v[56:59], v40, s[10:11] offset:608
	global_load_b128 v[40:43], v40, s[10:11] offset:624
	ds_load_2addr_b64 v[52:55], v52 offset0:106 offset1:223
	v_add_nc_u32_e32 v137, 0xc00, v122
	ds_load_2addr_b64 v[60:63], v137 offset0:84 offset1:201
	ds_load_2addr_b64 v[67:70], v67 offset0:62 offset1:179
	v_and_b32_e32 v75, 0xffff, v71
	ds_load_2addr_b64 v[78:81], v122 offset1:117
	s_wait_loadcnt_dscnt 0x302
	v_mul_f32_e32 v83, v60, v51
	s_wait_loadcnt_dscnt 0x201
	v_mul_f32_e32 v86, v68, v45
	v_mul_u32_u24_e32 v75, 0x186, v75
	v_dual_mul_f32 v82, v61, v51 :: v_dual_mul_f32 v87, v67, v45
	v_add_nc_u32_e32 v84, 0x600, v122
	s_delay_alu instid0(VALU_DEP_3) | instskip(SKIP_1) | instid1(VALU_DEP_4)
	v_add_lshl_u32 v133, v75, v64, 3
	v_mul_f32_e32 v75, v52, v49
	v_dual_fmac_f32 v87, v68, v44 :: v_dual_add_nc_u32 v72, 0x1c00, v122
	v_mul_f32_e32 v64, v53, v49
	s_delay_alu instid0(VALU_DEP_3)
	v_fmac_f32_e32 v75, v53, v48
	v_fma_f32 v53, v60, v50, -v82
	ds_load_2addr_b64 v[71:74], v72 offset0:40 offset1:157
	v_add_nc_u32_e32 v85, 0x1800, v122
	v_fma_f32 v52, v52, v48, -v64
	v_fmac_f32_e32 v83, v61, v50
	v_fma_f32 v64, v67, v44, -v86
	global_wb scope:SCOPE_SE
	s_wait_loadcnt_dscnt 0x0
	s_barrier_signal -1
	v_add_f32_e32 v60, v78, v52
	v_dual_sub_f32 v120, v75, v83 :: v_dual_sub_f32 v119, v53, v64
	s_barrier_wait -1
	global_inv scope:SCOPE_SE
	v_add_f32_e32 v93, v79, v75
	v_mul_f32_e32 v88, v72, v47
	v_mul_f32_e32 v89, v71, v47
	s_delay_alu instid0(VALU_DEP_2) | instskip(NEXT) | instid1(VALU_DEP_2)
	v_fma_f32 v82, v71, v46, -v88
	v_dual_fmac_f32 v89, v72, v46 :: v_dual_sub_f32 v88, v83, v87
	v_add_f32_e32 v61, v53, v64
	s_delay_alu instid0(VALU_DEP_3) | instskip(SKIP_1) | instid1(VALU_DEP_4)
	v_dual_sub_f32 v67, v52, v53 :: v_dual_sub_f32 v68, v82, v64
	v_dual_add_f32 v71, v52, v82 :: v_dual_sub_f32 v72, v53, v52
	v_sub_f32_e32 v86, v75, v89
	v_sub_f32_e32 v92, v64, v82
	v_dual_add_f32 v94, v83, v87 :: v_dual_sub_f32 v95, v52, v82
	v_dual_sub_f32 v138, v89, v87 :: v_dual_add_f32 v139, v75, v89
	v_sub_f32_e32 v75, v83, v75
	v_sub_f32_e32 v140, v87, v89
	v_dual_add_f32 v141, v60, v53 :: v_dual_add_f32 v142, v67, v68
	v_fma_f32 v60, -0.5, v71, v78
	v_fma_f32 v52, -0.5, v61, v78
	v_add_f32_e32 v78, v72, v92
	v_add_f32_e32 v68, v93, v83
	v_fma_f32 v53, -0.5, v94, v79
	v_add_f32_e32 v83, v120, v138
	v_add_f32_e32 v75, v75, v140
	v_fma_f32 v61, -0.5, v139, v79
	v_dual_mul_f32 v79, v55, v57 :: v_dual_mul_f32 v94, v62, v59
	v_dual_mul_f32 v92, v54, v57 :: v_dual_mul_f32 v93, v63, v59
	v_dual_mul_f32 v120, v70, v41 :: v_dual_fmamk_f32 v71, v88, 0xbf737871, v60
	v_dual_mul_f32 v138, v69, v41 :: v_dual_mul_f32 v139, v74, v43
	v_dual_mul_f32 v140, v73, v43 :: v_dual_fmamk_f32 v67, v86, 0x3f737871, v52
	v_dual_add_f32 v64, v141, v64 :: v_dual_add_f32 v87, v68, v87
	v_fmac_f32_e32 v52, 0xbf737871, v86
	v_fmac_f32_e32 v60, 0x3f737871, v88
	v_fma_f32 v79, v54, v56, -v79
	v_dual_fmac_f32 v92, v55, v56 :: v_dual_fmac_f32 v71, 0x3f167918, v86
	v_fmamk_f32 v72, v119, 0x3f737871, v61
	v_fmac_f32_e32 v61, 0xbf737871, v119
	v_fma_f32 v62, v62, v58, -v93
	s_delay_alu instid0(VALU_DEP_4)
	v_dual_add_f32 v93, v81, v92 :: v_dual_fmac_f32 v94, v63, v58
	v_fmac_f32_e32 v67, 0x3f167918, v88
	v_fma_f32 v63, v69, v40, -v120
	v_dual_fmac_f32 v138, v70, v40 :: v_dual_add_f32 v55, v87, v89
	v_fmac_f32_e32 v140, v74, v42
	v_fmamk_f32 v68, v95, 0xbf737871, v53
	v_fmac_f32_e32 v53, 0x3f737871, v95
	v_fma_f32 v69, v73, v42, -v139
	v_dual_add_f32 v54, v64, v82 :: v_dual_fmac_f32 v61, 0x3f167918, v95
	v_fmac_f32_e32 v52, 0xbf167918, v88
	s_delay_alu instid0(VALU_DEP_4) | instskip(NEXT) | instid1(VALU_DEP_4)
	v_fmac_f32_e32 v53, 0x3f167918, v119
	v_dual_add_f32 v87, v79, v69 :: v_dual_fmac_f32 v72, 0xbf167918, v95
	v_dual_add_f32 v64, v80, v79 :: v_dual_sub_f32 v143, v94, v92
	v_dual_add_f32 v70, v62, v63 :: v_dual_sub_f32 v139, v140, v138
	v_dual_sub_f32 v73, v92, v140 :: v_dual_fmac_f32 v68, 0xbf167918, v119
	v_add_f32_e32 v95, v94, v138
	v_dual_sub_f32 v74, v94, v138 :: v_dual_add_f32 v141, v92, v140
	v_dual_fmac_f32 v60, 0xbf167918, v86 :: v_dual_sub_f32 v89, v63, v69
	v_dual_sub_f32 v82, v79, v62 :: v_dual_sub_f32 v119, v62, v63
	v_dual_sub_f32 v86, v69, v63 :: v_dual_fmac_f32 v67, 0x3e9e377a, v142
	v_dual_sub_f32 v88, v62, v79 :: v_dual_fmac_f32 v71, 0x3e9e377a, v78
	v_dual_sub_f32 v79, v79, v69 :: v_dual_sub_f32 v120, v92, v94
	v_dual_fmac_f32 v53, 0x3e9e377a, v83 :: v_dual_sub_f32 v144, v138, v140
	v_dual_fmac_f32 v61, 0x3e9e377a, v75 :: v_dual_fmac_f32 v52, 0x3e9e377a, v142
	v_fmac_f32_e32 v68, 0x3e9e377a, v83
	v_fmac_f32_e32 v72, 0x3e9e377a, v75
	v_fma_f32 v92, -0.5, v70, v80
	v_add_f32_e32 v75, v93, v94
	v_fma_f32 v93, -0.5, v95, v81
	v_dual_add_f32 v62, v64, v62 :: v_dual_fmac_f32 v81, -0.5, v141
	v_fma_f32 v80, -0.5, v87, v80
	v_add_f32_e32 v70, v88, v89
	ds_store_2addr_b64 v134, v[54:55], v[67:68] offset1:78
	v_fmamk_f32 v54, v73, 0x3f737871, v92
	v_dual_fmac_f32 v92, 0xbf737871, v73 :: v_dual_fmamk_f32 v55, v79, 0xbf737871, v93
	v_dual_fmac_f32 v60, 0x3e9e377a, v78 :: v_dual_add_f32 v67, v62, v63
	v_dual_fmamk_f32 v63, v119, 0x3f737871, v81 :: v_dual_add_f32 v64, v82, v86
	v_dual_fmac_f32 v93, 0x3f737871, v79 :: v_dual_add_f32 v82, v143, v144
	v_dual_fmac_f32 v81, 0xbf737871, v119 :: v_dual_fmamk_f32 v62, v74, 0xbf737871, v80
	v_fmac_f32_e32 v80, 0x3f737871, v74
	v_dual_add_f32 v68, v75, v138 :: v_dual_fmac_f32 v55, 0xbf167918, v119
	s_delay_alu instid0(VALU_DEP_4)
	v_dual_fmac_f32 v54, 0x3f167918, v74 :: v_dual_fmac_f32 v93, 0x3f167918, v119
	v_dual_fmac_f32 v92, 0xbf167918, v74 :: v_dual_fmac_f32 v63, 0xbf167918, v79
	v_add_f32_e32 v78, v120, v139
	v_dual_fmac_f32 v62, 0x3f167918, v73 :: v_dual_fmac_f32 v81, 0x3f167918, v79
	v_fmac_f32_e32 v80, 0xbf167918, v73
	v_dual_add_f32 v67, v67, v69 :: v_dual_fmac_f32 v54, 0x3e9e377a, v64
	v_fmac_f32_e32 v63, 0x3e9e377a, v82
	s_delay_alu instid0(VALU_DEP_4)
	v_dual_fmac_f32 v81, 0x3e9e377a, v82 :: v_dual_add_f32 v68, v68, v140
	v_fmac_f32_e32 v55, 0x3e9e377a, v78
	v_fmac_f32_e32 v62, 0x3e9e377a, v70
	;; [unrolled: 1-line block ×3, first 2 shown]
	v_dual_fmac_f32 v92, 0x3e9e377a, v64 :: v_dual_fmac_f32 v93, 0x3e9e377a, v78
	ds_store_2addr_b64 v134, v[71:72], v[60:61] offset0:156 offset1:234
	ds_store_b64 v134, v[52:53] offset:2496
	ds_store_2addr_b64 v133, v[67:68], v[54:55] offset1:78
	ds_store_2addr_b64 v133, v[62:63], v[80:81] offset0:156 offset1:234
	ds_store_b64 v133, v[92:93] offset:2496
	global_wb scope:SCOPE_SE
	s_wait_dscnt 0x0
	s_barrier_signal -1
	s_barrier_wait -1
	global_inv scope:SCOPE_SE
	ds_load_2addr_b64 v[78:81], v122 offset1:117
	ds_load_2addr_b64 v[72:75], v84 offset0:42 offset1:198
	ds_load_2addr_b64 v[82:85], v85 offset0:12 offset1:129
	;; [unrolled: 1-line block ×3, first 2 shown]
	ds_load_b64 v[119:120], v122 offset:8112
	v_add_co_u32 v94, s1, s8, v122
	s_wait_alu 0xf1ff
	v_add_co_ci_u32_e64 v95, null, s9, 0, s1
	s_and_saveexec_b32 s1, vcc_lo
	s_cbranch_execz .LBB0_11
; %bb.10:
	ds_load_b64 v[92:93], v122 offset:2808
	ds_load_b64 v[90:91], v122 offset:5928
	;; [unrolled: 1-line block ×3, first 2 shown]
.LBB0_11:
	s_wait_alu 0xfffe
	s_or_b32 exec_lo, exec_lo, s1
	v_lshlrev_b32_e32 v52, 3, v66
	v_lshlrev_b32_e32 v53, 3, v65
	s_clause 0x2
	global_load_b128 v[68:71], v52, s[10:11] offset:3104
	global_load_b128 v[64:67], v53, s[10:11] offset:3104
	;; [unrolled: 1-line block ×3, first 2 shown]
	v_add_co_u32 v52, s1, 0xffffffd9, v121
	s_wait_alu 0xf1ff
	v_add_co_ci_u32_e64 v53, null, 0, -1, s1
	s_delay_alu instid0(VALU_DEP_2) | instskip(NEXT) | instid1(VALU_DEP_2)
	v_dual_cndmask_b32 v52, v52, v135 :: v_dual_add_nc_u32 v135, 0x1d40, v128
	v_cndmask_b32_e32 v53, v53, v136, vcc_lo
	s_delay_alu instid0(VALU_DEP_1) | instskip(NEXT) | instid1(VALU_DEP_1)
	v_lshlrev_b64_e32 v[52:53], 4, v[52:53]
	v_add_co_u32 v52, s1, s10, v52
	s_wait_alu 0xf1ff
	s_delay_alu instid0(VALU_DEP_2)
	v_add_co_ci_u32_e64 v53, s1, s11, v53, s1
	global_load_b128 v[52:55], v[52:53], off offset:3104
	s_wait_loadcnt_dscnt 0x303
	v_mul_f32_e32 v136, v75, v69
	s_wait_dscnt 0x2
	v_dual_mul_f32 v138, v74, v69 :: v_dual_mul_f32 v139, v83, v71
	s_wait_loadcnt_dscnt 0x201
	v_dual_mul_f32 v140, v82, v71 :: v_dual_mul_f32 v141, v87, v65
	v_dual_mul_f32 v142, v86, v65 :: v_dual_mul_f32 v143, v85, v67
	s_wait_loadcnt 0x1
	v_dual_mul_f32 v144, v84, v67 :: v_dual_mul_f32 v145, v89, v61
	s_wait_dscnt 0x0
	v_dual_mul_f32 v147, v120, v63 :: v_dual_fmac_f32 v138, v75, v68
	v_fma_f32 v74, v74, v68, -v136
	v_mul_f32_e32 v146, v88, v61
	v_fma_f32 v75, v82, v70, -v139
	v_fmac_f32_e32 v140, v83, v70
	v_fma_f32 v82, v86, v64, -v141
	v_fma_f32 v83, v84, v66, -v143
	;; [unrolled: 1-line block ×3, first 2 shown]
	v_dual_sub_f32 v141, v74, v75 :: v_dual_fmac_f32 v142, v87, v64
	v_fmac_f32_e32 v144, v85, v66
	v_add_f32_e32 v85, v78, v74
	s_delay_alu instid0(VALU_DEP_4) | instskip(SKIP_4) | instid1(VALU_DEP_4)
	v_add_f32_e32 v139, v72, v84
	v_dual_fmac_f32 v146, v89, v60 :: v_dual_add_f32 v87, v79, v138
	v_add_f32_e32 v89, v82, v83
	v_dual_mul_f32 v148, v119, v63 :: v_dual_sub_f32 v143, v142, v144
	v_fma_f32 v119, v119, v62, -v147
	v_dual_add_f32 v86, v74, v75 :: v_dual_add_f32 v147, v73, v146
	s_delay_alu instid0(VALU_DEP_3) | instskip(NEXT) | instid1(VALU_DEP_3)
	v_fmac_f32_e32 v148, v120, v62
	v_dual_sub_f32 v136, v138, v140 :: v_dual_sub_f32 v149, v84, v119
	v_add_f32_e32 v88, v138, v140
	v_add_f32_e32 v120, v81, v142
	;; [unrolled: 1-line block ×4, first 2 shown]
	v_dual_add_f32 v84, v85, v75 :: v_dual_add_f32 v85, v87, v140
	v_dual_add_f32 v74, v80, v82 :: v_dual_sub_f32 v145, v146, v148
	v_add_f32_e32 v146, v146, v148
	v_fma_f32 v86, -0.5, v86, v78
	v_fma_f32 v80, -0.5, v89, v80
	v_add_f32_e32 v119, v139, v119
	v_dual_sub_f32 v82, v82, v83 :: v_dual_add_f32 v89, v120, v144
	v_fmac_f32_e32 v73, -0.5, v146
	v_fmac_f32_e32 v81, -0.5, v138
	v_fma_f32 v87, -0.5, v88, v79
	v_add_f32_e32 v88, v74, v83
	s_wait_loadcnt 0x0
	v_mul_f32_e32 v78, v91, v53
	v_mul_f32_e32 v75, v90, v53
	;; [unrolled: 1-line block ×4, first 2 shown]
	v_dual_add_f32 v120, v147, v148 :: v_dual_fmamk_f32 v139, v141, 0xbf5db3d7, v87
	v_fmac_f32_e32 v87, 0x3f5db3d7, v141
	v_fmamk_f32 v141, v82, 0xbf5db3d7, v81
	v_fmac_f32_e32 v81, 0x3f5db3d7, v82
	v_fma_f32 v83, v90, v52, -v78
	v_fma_f32 v82, v76, v54, -v79
	v_dual_fmac_f32 v75, v91, v52 :: v_dual_fmac_f32 v74, v77, v54
	v_fmamk_f32 v138, v136, 0x3f5db3d7, v86
	v_fma_f32 v72, -0.5, v142, v72
	s_delay_alu instid0(VALU_DEP_4) | instskip(SKIP_3) | instid1(VALU_DEP_4)
	v_add_f32_e32 v76, v83, v82
	v_dual_fmac_f32 v86, 0xbf5db3d7, v136 :: v_dual_fmamk_f32 v91, v149, 0xbf5db3d7, v73
	v_add_f32_e32 v77, v75, v74
	v_sub_f32_e32 v136, v75, v74
	v_fma_f32 v78, -0.5, v76, v92
	v_sub_f32_e32 v142, v83, v82
	v_dual_fmamk_f32 v140, v143, 0x3f5db3d7, v80 :: v_dual_fmac_f32 v73, 0x3f5db3d7, v149
	v_fma_f32 v79, -0.5, v77, v93
	v_fmac_f32_e32 v80, 0xbf5db3d7, v143
	v_fmamk_f32 v90, v145, 0x3f5db3d7, v72
	v_fmamk_f32 v76, v136, 0x3f5db3d7, v78
	s_delay_alu instid0(VALU_DEP_4)
	v_dual_fmac_f32 v78, 0xbf5db3d7, v136 :: v_dual_fmamk_f32 v77, v142, 0xbf5db3d7, v79
	v_fmac_f32_e32 v79, 0x3f5db3d7, v142
	v_fmac_f32_e32 v72, 0xbf5db3d7, v145
	ds_store_b64 v122, v[138:139] offset:3120
	ds_store_b64 v122, v[86:87] offset:6240
	ds_store_2addr_b64 v122, v[84:85], v[88:89] offset1:117
	ds_store_b64 v122, v[80:81] offset:7176
	ds_store_b64 v122, v[119:120] offset:1872
	ds_store_2addr_b64 v137, v[140:141], v[90:91] offset0:123 offset1:240
	ds_store_b64 v122, v[72:73] offset:8112
	s_and_saveexec_b32 s1, vcc_lo
	s_cbranch_execz .LBB0_13
; %bb.12:
	v_add_f32_e32 v72, v93, v75
	v_add_f32_e32 v75, v92, v83
	s_delay_alu instid0(VALU_DEP_2) | instskip(NEXT) | instid1(VALU_DEP_2)
	v_add_f32_e32 v73, v72, v74
	v_add_f32_e32 v72, v75, v82
	ds_store_b64 v122, v[72:73] offset:2808
	ds_store_b64 v122, v[76:77] offset:5928
	ds_store_b64 v122, v[78:79] offset:9048
.LBB0_13:
	s_wait_alu 0xfffe
	s_or_b32 exec_lo, exec_lo, s1
	global_wb scope:SCOPE_SE
	s_wait_dscnt 0x0
	s_barrier_signal -1
	s_barrier_wait -1
	global_inv scope:SCOPE_SE
	global_load_b64 v[80:81], v[94:95], off offset:9360
	v_lshlrev_b32_e32 v72, 3, v121
	s_add_nc_u64 s[8:9], s[8:9], 0x2490
	s_clause 0x8
	global_load_b64 v[139:140], v72, s[8:9] offset:936
	global_load_b64 v[141:142], v72, s[8:9] offset:4680
	global_load_b64 v[143:144], v72, s[8:9] offset:5616
	global_load_b64 v[145:146], v72, s[8:9] offset:1872
	global_load_b64 v[147:148], v72, s[8:9] offset:6552
	global_load_b64 v[149:150], v72, s[8:9] offset:2808
	global_load_b64 v[151:152], v72, s[8:9] offset:7488
	global_load_b64 v[153:154], v72, s[8:9] offset:3744
	global_load_b64 v[155:156], v72, s[8:9] offset:8424
	ds_load_2addr_b64 v[72:75], v122 offset1:117
	v_add_nc_u32_e32 v137, 0x400, v122
	v_add_nc_u32_e32 v157, 0xc00, v122
	;; [unrolled: 1-line block ×4, first 2 shown]
	s_wait_loadcnt_dscnt 0x900
	v_mul_f32_e32 v83, v73, v81
	v_mul_f32_e32 v82, v72, v81
	s_delay_alu instid0(VALU_DEP_2) | instskip(NEXT) | instid1(VALU_DEP_2)
	v_fma_f32 v81, v72, v80, -v83
	v_fmac_f32_e32 v82, v73, v80
	s_wait_loadcnt 0x8
	v_mul_f32_e32 v72, v75, v140
	v_dual_mul_f32 v73, v74, v140 :: v_dual_add_nc_u32 v136, 0x1000, v122
	ds_store_b64 v122, v[81:82]
	ds_load_2addr_b64 v[80:83], v157 offset0:84 offset1:201
	ds_load_2addr_b64 v[84:87], v119 offset0:62 offset1:179
	;; [unrolled: 1-line block ×3, first 2 shown]
	v_fmac_f32_e32 v73, v75, v139
	ds_load_2addr_b64 v[92:95], v158 offset0:40 offset1:157
	v_add_nc_u32_e32 v120, 0x1800, v122
	v_fma_f32 v72, v74, v139, -v72
	s_wait_loadcnt_dscnt 0x703
	v_mul_f32_e32 v74, v83, v142
	s_wait_loadcnt_dscnt 0x602
	v_dual_mul_f32 v75, v82, v142 :: v_dual_mul_f32 v140, v84, v144
	v_mul_f32_e32 v139, v85, v144
	s_wait_loadcnt_dscnt 0x401
	v_dual_mul_f32 v159, v89, v146 :: v_dual_mul_f32 v160, v87, v148
	v_mul_f32_e32 v142, v88, v146
	s_wait_loadcnt 0x3
	v_dual_mul_f32 v144, v86, v148 :: v_dual_mul_f32 v161, v91, v150
	s_wait_loadcnt_dscnt 0x200
	v_mul_f32_e32 v162, v93, v152
	s_wait_loadcnt 0x1
	v_dual_mul_f32 v148, v92, v152 :: v_dual_mul_f32 v163, v81, v154
	v_mul_f32_e32 v146, v90, v150
	v_mul_f32_e32 v150, v80, v154
	s_wait_loadcnt 0x0
	v_mul_f32_e32 v154, v95, v156
	v_mul_f32_e32 v152, v94, v156
	v_dual_fmac_f32 v75, v83, v141 :: v_dual_add_nc_u32 v138, 0x800, v122
	v_fma_f32 v74, v82, v141, -v74
	v_fma_f32 v139, v84, v143, -v139
	v_fmac_f32_e32 v140, v85, v143
	v_fma_f32 v141, v88, v145, -v159
	v_fmac_f32_e32 v142, v89, v145
	;; [unrolled: 2-line block ×7, first 2 shown]
	ds_store_2addr_b64 v136, v[74:75], v[139:140] offset0:73 offset1:190
	ds_store_2addr_b64 v122, v[72:73], v[141:142] offset0:117 offset1:234
	;; [unrolled: 1-line block ×4, first 2 shown]
	ds_store_b64 v122, v[151:152] offset:8424
	global_wb scope:SCOPE_SE
	s_wait_dscnt 0x0
	s_barrier_signal -1
	s_barrier_wait -1
	global_inv scope:SCOPE_SE
	ds_load_2addr_b64 v[139:142], v122 offset1:117
	ds_load_2addr_b64 v[80:83], v157 offset0:84 offset1:201
	ds_load_2addr_b64 v[84:87], v119 offset0:62 offset1:179
	;; [unrolled: 1-line block ×4, first 2 shown]
	global_wb scope:SCOPE_SE
	s_wait_dscnt 0x0
	s_barrier_signal -1
	s_barrier_wait -1
	global_inv scope:SCOPE_SE
	v_dual_sub_f32 v74, v139, v82 :: v_dual_sub_f32 v75, v140, v83
	v_dual_sub_f32 v94, v141, v84 :: v_dual_sub_f32 v95, v142, v85
	;; [unrolled: 1-line block ×5, first 2 shown]
	v_fma_f32 v72, v139, 2.0, -v74
	v_fma_f32 v73, v140, 2.0, -v75
	;; [unrolled: 1-line block ×10, first 2 shown]
	ds_store_b128 v128, v[72:75]
	ds_store_b128 v127, v[92:95]
	ds_store_b128 v126, v[88:91]
	ds_store_b128 v125, v[84:87]
	ds_store_b128 v135, v[80:83]
	global_wb scope:SCOPE_SE
	s_wait_dscnt 0x0
	s_barrier_signal -1
	s_barrier_wait -1
	global_inv scope:SCOPE_SE
	s_and_saveexec_b32 s1, s0
	s_cbranch_execz .LBB0_15
; %bb.14:
	ds_load_2addr_b64 v[72:75], v122 offset1:90
	ds_load_2addr_b64 v[92:95], v137 offset0:52 offset1:142
	ds_load_2addr_b64 v[88:91], v138 offset0:104 offset1:194
	;; [unrolled: 1-line block ×5, first 2 shown]
	ds_load_b64 v[117:118], v122 offset:8640
.LBB0_15:
	s_wait_alu 0xfffe
	s_or_b32 exec_lo, exec_lo, s1
	s_wait_dscnt 0x5
	v_dual_mul_f32 v119, v21, v75 :: v_dual_mul_f32 v120, v23, v93
	v_dual_mul_f32 v21, v21, v74 :: v_dual_mul_f32 v126, v23, v92
	v_mul_f32_e32 v23, v17, v95
	v_mul_f32_e32 v17, v17, v94
	s_delay_alu instid0(VALU_DEP_4) | instskip(NEXT) | instid1(VALU_DEP_4)
	v_dual_fmac_f32 v119, v20, v74 :: v_dual_fmac_f32 v120, v22, v92
	v_fma_f32 v125, v20, v75, -v21
	s_wait_dscnt 0x4
	v_mul_f32_e32 v74, v19, v89
	v_fma_f32 v92, v22, v93, -v126
	v_fmac_f32_e32 v23, v16, v94
	v_fma_f32 v75, v16, v95, -v17
	v_mul_f32_e32 v16, v19, v88
	v_fmac_f32_e32 v74, v18, v88
	v_mul_f32_e32 v22, v13, v91
	v_mul_f32_e32 v17, v13, v90
	s_wait_dscnt 0x3
	v_mul_f32_e32 v13, v15, v85
	v_mul_f32_e32 v15, v15, v84
	v_fma_f32 v88, v18, v89, -v16
	v_fmac_f32_e32 v22, v12, v90
	s_wait_dscnt 0x2
	v_mul_f32_e32 v16, v3, v80
	v_fmac_f32_e32 v13, v14, v84
	v_fma_f32 v15, v14, v85, -v15
	v_mul_f32_e32 v14, v3, v81
	v_fma_f32 v89, v12, v91, -v17
	v_mul_f32_e32 v12, v1, v87
	v_mul_f32_e32 v1, v1, v86
	s_delay_alu instid0(VALU_DEP_4) | instskip(SKIP_1) | instid1(VALU_DEP_4)
	v_dual_mul_f32 v3, v9, v83 :: v_dual_fmac_f32 v14, v2, v80
	v_fma_f32 v80, v2, v81, -v16
	v_fmac_f32_e32 v12, v0, v86
	s_delay_alu instid0(VALU_DEP_4)
	v_fma_f32 v84, v0, v87, -v1
	s_wait_dscnt 0x1
	v_dual_mul_f32 v16, v9, v82 :: v_dual_mul_f32 v9, v11, v77
	s_wait_dscnt 0x0
	v_mul_f32_e32 v0, v7, v117
	v_mul_f32_e32 v1, v7, v118
	;; [unrolled: 1-line block ×3, first 2 shown]
	v_fmac_f32_e32 v3, v8, v82
	v_fmac_f32_e32 v9, v10, v76
	v_fma_f32 v2, v6, v118, -v0
	v_dual_mul_f32 v0, v11, v76 :: v_dual_fmac_f32 v1, v6, v117
	v_mul_f32_e32 v6, v5, v79
	v_fma_f32 v11, v8, v83, -v16
	s_delay_alu instid0(VALU_DEP_4)
	v_add_f32_e32 v91, v2, v125
	v_sub_f32_e32 v81, v125, v2
	v_fma_f32 v10, v10, v77, -v0
	v_add_f32_e32 v0, v1, v119
	v_dual_fmac_f32 v6, v4, v78 :: v_dual_sub_f32 v5, v119, v1
	v_mul_f32_e32 v140, 0x3df6dbef, v91
	v_mul_f32_e32 v94, 0xbf52af12, v81
	;; [unrolled: 1-line block ×3, first 2 shown]
	v_fma_f32 v8, v4, v79, -v7
	global_wb scope:SCOPE_SE
	v_fmamk_f32 v17, v5, 0xbf7e222b, v140
	v_fma_f32 v16, 0x3f116cb1, v0, -v94
	v_mul_f32_e32 v117, 0x3f116cb1, v91
	v_fma_f32 v7, 0x3df6dbef, v0, -v128
	v_add_f32_e32 v95, v8, v92
	v_sub_f32_e32 v85, v92, v8
	v_add_f32_e32 v16, v72, v16
	s_delay_alu instid0(VALU_DEP_4) | instskip(SKIP_2) | instid1(VALU_DEP_3)
	v_dual_fmamk_f32 v4, v5, 0xbf52af12, v117 :: v_dual_add_f32 v19, v72, v7
	v_mul_f32_e32 v145, 0xbf6f5d39, v81
	v_dual_add_f32 v17, v73, v17 :: v_dual_mul_f32 v136, 0xbeb58ec6, v95
	v_add_f32_e32 v18, v73, v4
	v_mul_f32_e32 v126, 0xbf6f5d39, v85
	s_delay_alu instid0(VALU_DEP_4) | instskip(SKIP_4) | instid1(VALU_DEP_2)
	v_fma_f32 v4, 0xbeb58ec6, v0, -v145
	v_mul_f32_e32 v151, 0xbeb58ec6, v91
	v_mul_f32_e32 v146, 0xbf788fa5, v95
	s_barrier_signal -1
	s_barrier_wait -1
	v_dual_add_f32 v20, v72, v4 :: v_dual_fmamk_f32 v7, v5, 0xbf6f5d39, v151
	v_add_f32_e32 v4, v6, v120
	v_dual_sub_f32 v90, v75, v10 :: v_dual_mul_f32 v153, 0x3f29c268, v85
	v_dual_add_f32 v127, v10, v75 :: v_dual_add_f32 v138, v11, v88
	s_delay_alu instid0(VALU_DEP_3) | instskip(NEXT) | instid1(VALU_DEP_3)
	v_fma_f32 v76, 0xbeb58ec6, v4, -v126
	v_dual_mul_f32 v148, 0x3f6f5d39, v90 :: v_dual_add_f32 v21, v73, v7
	v_sub_f32_e32 v7, v120, v6
	s_delay_alu instid0(VALU_DEP_3) | instskip(SKIP_2) | instid1(VALU_DEP_4)
	v_dual_mul_f32 v137, 0xbe750f2a, v90 :: v_dual_add_f32 v16, v76, v16
	v_fma_f32 v79, 0xbf3f9e67, v4, -v153
	v_mul_f32_e32 v160, 0x3eedf032, v90
	v_fmamk_f32 v76, v7, 0xbe750f2a, v146
	v_fmamk_f32 v77, v7, 0xbf6f5d39, v136
	s_delay_alu instid0(VALU_DEP_4) | instskip(NEXT) | instid1(VALU_DEP_3)
	v_dual_mul_f32 v159, 0xbf3f9e67, v95 :: v_dual_add_f32 v20, v79, v20
	v_dual_mul_f32 v150, 0xbeb58ec6, v127 :: v_dual_add_f32 v17, v76, v17
	v_dual_add_f32 v76, v9, v23 :: v_dual_mul_f32 v143, 0xbe750f2a, v85
	s_delay_alu instid0(VALU_DEP_4) | instskip(SKIP_1) | instid1(VALU_DEP_3)
	v_dual_add_f32 v18, v77, v18 :: v_dual_sub_f32 v77, v23, v9
	v_mul_f32_e32 v141, 0xbf788fa5, v127
	v_fma_f32 v82, 0xbeb58ec6, v76, -v148
	s_delay_alu instid0(VALU_DEP_4) | instskip(SKIP_3) | instid1(VALU_DEP_4)
	v_fma_f32 v78, 0xbf788fa5, v4, -v143
	v_dual_sub_f32 v93, v88, v11 :: v_dual_mul_f32 v156, 0x3f62ad3f, v138
	v_fmamk_f32 v83, v77, 0x3f6f5d39, v150
	v_mul_f32_e32 v164, 0x3f62ad3f, v127
	v_dual_add_f32 v19, v78, v19 :: v_dual_fmamk_f32 v78, v7, 0x3f29c268, v159
	s_delay_alu instid0(VALU_DEP_4) | instskip(SKIP_2) | instid1(VALU_DEP_4)
	v_mul_f32_e32 v144, 0x3f29c268, v93
	v_mul_f32_e32 v154, 0x3eedf032, v93
	v_add_f32_e32 v139, v80, v89
	v_add_f32_e32 v19, v82, v19
	;; [unrolled: 1-line block ×3, first 2 shown]
	v_fma_f32 v78, 0xbf788fa5, v76, -v137
	v_mul_f32_e32 v163, 0xbf7e222b, v93
	v_dual_mul_f32 v167, 0x3df6dbef, v138 :: v_dual_mul_f32 v152, 0x3df6dbef, v139
	s_delay_alu instid0(VALU_DEP_3)
	v_dual_mul_f32 v161, 0x3f116cb1, v139 :: v_dual_add_f32 v16, v78, v16
	v_fma_f32 v78, 0x3f62ad3f, v76, -v160
	v_fmamk_f32 v79, v77, 0xbe750f2a, v141
	global_inv scope:SCOPE_SE
	v_add_f32_e32 v20, v78, v20
	v_add_f32_e32 v18, v79, v18
	v_dual_add_f32 v78, v3, v74 :: v_dual_sub_f32 v79, v74, v3
	v_add_f32_e32 v17, v83, v17
	s_delay_alu instid0(VALU_DEP_2)
	v_fma_f32 v83, 0xbf3f9e67, v78, -v144
	v_mul_f32_e32 v147, 0xbf3f9e67, v138
	v_fma_f32 v87, 0x3f62ad3f, v78, -v154
	v_fmamk_f32 v118, v79, 0x3eedf032, v156
	v_fmamk_f32 v82, v77, 0x3eedf032, v164
	v_add_f32_e32 v16, v83, v16
	s_delay_alu instid0(VALU_DEP_4) | instskip(NEXT) | instid1(VALU_DEP_3)
	v_add_f32_e32 v19, v87, v19
	v_dual_fmamk_f32 v86, v79, 0x3f29c268, v147 :: v_dual_add_f32 v21, v82, v21
	v_dual_add_f32 v17, v118, v17 :: v_dual_sub_f32 v118, v89, v80
	v_dual_add_f32 v82, v14, v22 :: v_dual_fmamk_f32 v87, v79, 0xbf7e222b, v167
	s_delay_alu instid0(VALU_DEP_3) | instskip(SKIP_1) | instid1(VALU_DEP_4)
	v_add_f32_e32 v18, v86, v18
	v_fma_f32 v86, 0x3df6dbef, v78, -v163
	v_mul_f32_e32 v149, 0x3f7e222b, v118
	v_mul_f32_e32 v157, 0xbf52af12, v118
	;; [unrolled: 1-line block ×3, first 2 shown]
	s_delay_alu instid0(VALU_DEP_4) | instskip(NEXT) | instid1(VALU_DEP_4)
	v_add_f32_e32 v20, v86, v20
	v_fma_f32 v135, 0x3df6dbef, v82, -v149
	v_sub_f32_e32 v83, v22, v14
	v_fma_f32 v86, 0x3f116cb1, v82, -v157
	v_add_f32_e32 v21, v87, v21
	s_delay_alu instid0(VALU_DEP_4)
	v_add_f32_e32 v16, v135, v16
	v_sub_f32_e32 v135, v15, v84
	v_fmamk_f32 v142, v83, 0x3f7e222b, v152
	v_add_f32_e32 v172, v86, v19
	v_mul_f32_e32 v169, 0xbf788fa5, v139
	v_fma_f32 v19, 0xbf788fa5, v82, -v166
	s_delay_alu instid0(VALU_DEP_4) | instskip(SKIP_1) | instid1(VALU_DEP_4)
	v_dual_add_f32 v86, v12, v13 :: v_dual_add_f32 v171, v142, v18
	v_fmamk_f32 v18, v83, 0xbf52af12, v161
	v_dual_fmamk_f32 v87, v83, 0x3e750f2a, v169 :: v_dual_add_f32 v142, v84, v15
	s_delay_alu instid0(VALU_DEP_4) | instskip(NEXT) | instid1(VALU_DEP_2)
	v_dual_add_f32 v173, v19, v20 :: v_dual_mul_f32 v162, 0xbf29c268, v135
	v_dual_mul_f32 v155, 0x3eedf032, v135 :: v_dual_add_f32 v174, v87, v21
	v_dual_sub_f32 v87, v13, v12 :: v_dual_mul_f32 v168, 0x3f52af12, v135
	s_delay_alu instid0(VALU_DEP_3) | instskip(SKIP_3) | instid1(VALU_DEP_3)
	v_fma_f32 v20, 0xbf3f9e67, v86, -v162
	v_mul_f32_e32 v165, 0xbf3f9e67, v142
	v_dual_add_f32 v17, v18, v17 :: v_dual_mul_f32 v158, 0x3f62ad3f, v142
	v_fma_f32 v18, 0x3f62ad3f, v86, -v155
	v_dual_add_f32 v20, v20, v172 :: v_dual_fmamk_f32 v21, v87, 0xbf29c268, v165
	v_fma_f32 v175, 0x3f116cb1, v86, -v168
	s_delay_alu instid0(VALU_DEP_3) | instskip(NEXT) | instid1(VALU_DEP_3)
	v_add_f32_e32 v18, v18, v16
	v_dual_fmamk_f32 v16, v87, 0x3eedf032, v158 :: v_dual_add_f32 v21, v21, v17
	s_delay_alu instid0(VALU_DEP_1) | instskip(NEXT) | instid1(VALU_DEP_1)
	v_dual_mul_f32 v170, 0x3f116cb1, v142 :: v_dual_add_f32 v19, v16, v171
	v_fmamk_f32 v176, v87, 0x3f52af12, v170
	s_delay_alu instid0(VALU_DEP_1)
	v_dual_add_f32 v16, v175, v173 :: v_dual_add_f32 v17, v176, v174
	s_and_saveexec_b32 s1, s0
	s_cbranch_execz .LBB0_17
; %bb.16:
	v_mul_f32_e32 v231, 0xbeb58ec6, v139
	v_mul_f32_e32 v174, 0x3f7e222b, v7
	v_dual_mul_f32 v209, 0xbf29c268, v87 :: v_dual_mul_f32 v210, 0xbf29c268, v81
	v_mul_f32_e32 v179, 0x3df6dbef, v0
	s_delay_alu instid0(VALU_DEP_4) | instskip(SKIP_4) | instid1(VALU_DEP_4)
	v_fmamk_f32 v234, v83, 0x3f6f5d39, v231
	v_mul_f32_e32 v173, 0xbf29c268, v5
	v_dual_mul_f32 v202, 0xbf52af12, v83 :: v_dual_mul_f32 v207, 0xbf52af12, v77
	v_fmamk_f32 v172, v95, 0x3df6dbef, v174
	v_fma_f32 v213, 0xbf3f9e67, v0, -v210
	v_dual_fmamk_f32 v171, v91, 0xbf3f9e67, v173 :: v_dual_fmac_f32 v210, 0xbf3f9e67, v0
	v_mul_f32_e32 v178, 0xbf52af12, v5
	v_mul_f32_e32 v177, 0x3f116cb1, v0
	;; [unrolled: 1-line block ×3, first 2 shown]
	s_delay_alu instid0(VALU_DEP_4) | instskip(SKIP_2) | instid1(VALU_DEP_3)
	v_dual_add_f32 v171, v73, v171 :: v_dual_mul_f32 v180, 0xbf7e222b, v5
	v_mul_f32_e32 v214, 0x3f7e222b, v85
	v_dual_mul_f32 v182, 0xbf6f5d39, v7 :: v_dual_add_f32 v213, v72, v213
	v_dual_add_f32 v171, v172, v171 :: v_dual_fmamk_f32 v172, v127, 0x3f116cb1, v207
	v_mul_f32_e32 v176, 0xbf6f5d39, v5
	v_mul_f32_e32 v183, 0xbf788fa5, v4
	v_dual_mul_f32 v192, 0x3eedf032, v77 :: v_dual_mul_f32 v215, 0x3eedf032, v83
	s_delay_alu instid0(VALU_DEP_4)
	v_dual_add_f32 v171, v172, v171 :: v_dual_fmamk_f32 v172, v138, 0xbf788fa5, v211
	v_fma_f32 v216, 0x3df6dbef, v4, -v214
	v_mul_f32_e32 v227, 0x3f116cb1, v138
	v_mul_f32_e32 v217, 0xbf52af12, v90
	;; [unrolled: 1-line block ×3, first 2 shown]
	v_dual_mul_f32 v188, 0xbe750f2a, v77 :: v_dual_add_f32 v171, v172, v171
	v_dual_mul_f32 v191, 0x3f62ad3f, v76 :: v_dual_fmamk_f32 v172, v139, 0x3f62ad3f, v215
	v_dual_mul_f32 v204, 0x3e750f2a, v83 :: v_dual_mul_f32 v219, 0x3e750f2a, v93
	v_add_f32_e32 v213, v216, v213
	v_fma_f32 v216, 0x3f116cb1, v76, -v217
	v_mul_f32_e32 v220, 0xbf6f5d39, v87
	v_dual_mul_f32 v221, 0xbf788fa5, v91 :: v_dual_add_f32 v210, v72, v210
	v_mul_f32_e32 v175, 0xbeb58ec6, v0
	s_delay_alu instid0(VALU_DEP_3)
	v_dual_mul_f32 v181, 0xbeb58ec6, v4 :: v_dual_fmamk_f32 v222, v142, 0xbeb58ec6, v220
	v_dual_mul_f32 v190, 0x3f6f5d39, v77 :: v_dual_add_f32 v171, v172, v171
	v_dual_mul_f32 v195, 0x3f62ad3f, v78 :: v_dual_mul_f32 v224, 0x3f62ad3f, v95
	v_add_f32_e32 v172, v216, v213
	v_fma_f32 v213, 0xbf788fa5, v78, -v219
	v_fmamk_f32 v223, v5, 0x3e750f2a, v221
	v_mul_f32_e32 v186, 0x3f29c268, v7
	v_mul_f32_e32 v187, 0xbf788fa5, v76
	s_delay_alu instid0(VALU_DEP_4) | instskip(SKIP_4) | instid1(VALU_DEP_3)
	v_dual_mul_f32 v212, 0x3f116cb1, v86 :: v_dual_add_f32 v213, v213, v172
	v_add_f32_e32 v172, v222, v171
	v_dual_add_f32 v171, v73, v223 :: v_dual_fmamk_f32 v222, v7, 0xbeedf032, v224
	v_mul_f32_e32 v223, 0xbf3f9e67, v127
	v_dual_mul_f32 v226, 0xbe750f2a, v81 :: v_dual_sub_f32 v151, v151, v176
	v_dual_mul_f32 v230, 0x3eedf032, v85 :: v_dual_add_f32 v171, v222, v171
	s_delay_alu instid0(VALU_DEP_3) | instskip(SKIP_3) | instid1(VALU_DEP_4)
	v_fmamk_f32 v222, v77, 0x3f29c268, v223
	v_mul_f32_e32 v216, 0x3eedf032, v118
	v_dual_mul_f32 v236, 0x3f7e222b, v135 :: v_dual_sub_f32 v159, v159, v186
	v_add_f32_e32 v151, v73, v151
	v_add_f32_e32 v171, v222, v171
	s_delay_alu instid0(VALU_DEP_4)
	v_fma_f32 v225, 0x3f62ad3f, v82, -v216
	v_fmamk_f32 v222, v79, 0xbf52af12, v227
	v_mul_f32_e32 v189, 0xbeb58ec6, v76
	v_mul_f32_e32 v194, 0x3f29c268, v79
	v_fmac_f32_e32 v219, 0xbf788fa5, v78
	v_add_f32_e32 v213, v225, v213
	v_mul_f32_e32 v225, 0xbf6f5d39, v135
	v_dual_fmamk_f32 v229, v0, 0xbf788fa5, v226 :: v_dual_add_f32 v222, v222, v171
	v_mul_f32_e32 v196, 0x3eedf032, v79
	v_dual_mul_f32 v205, 0x3f62ad3f, v86 :: v_dual_fmamk_f32 v232, v4, 0x3f62ad3f, v230
	s_delay_alu instid0(VALU_DEP_3)
	v_dual_add_f32 v229, v72, v229 :: v_dual_add_f32 v222, v234, v222
	v_mul_f32_e32 v234, 0xbf6f5d39, v118
	v_fma_f32 v228, 0xbeb58ec6, v86, -v225
	v_dual_add_f32 v151, v159, v151 :: v_dual_fmac_f32 v216, 0x3f62ad3f, v82
	v_mul_f32_e32 v233, 0xbf29c268, v90
	v_mul_f32_e32 v193, 0xbf3f9e67, v78
	s_delay_alu instid0(VALU_DEP_4) | instskip(SKIP_1) | instid1(VALU_DEP_4)
	v_dual_mul_f32 v198, 0xbf7e222b, v79 :: v_dual_add_f32 v171, v228, v213
	v_dual_mul_f32 v200, 0x3f7e222b, v83 :: v_dual_add_f32 v213, v232, v229
	v_fmamk_f32 v228, v76, 0xbf3f9e67, v233
	v_fma_f32 v173, 0xbf3f9e67, v91, -v173
	v_mul_f32_e32 v206, 0x3eedf032, v87
	v_dual_mul_f32 v185, 0xbf3f9e67, v4 :: v_dual_mul_f32 v208, 0xbf3f9e67, v86
	s_delay_alu instid0(VALU_DEP_4) | instskip(NEXT) | instid1(VALU_DEP_4)
	v_add_f32_e32 v213, v228, v213
	v_add_f32_e32 v173, v73, v173
	v_fma_f32 v174, 0x3df6dbef, v95, -v174
	v_fma_f32 v207, 0x3f116cb1, v127, -v207
	v_add_f32_e32 v145, v175, v145
	v_dual_sub_f32 v159, v164, v192 :: v_dual_sub_f32 v150, v150, v190
	s_delay_alu instid0(VALU_DEP_4) | instskip(NEXT) | instid1(VALU_DEP_3)
	v_dual_add_f32 v173, v174, v173 :: v_dual_mul_f32 v232, 0x3df6dbef, v142
	v_add_f32_e32 v145, v72, v145
	v_dual_add_f32 v153, v185, v153 :: v_dual_sub_f32 v140, v140, v180
	s_delay_alu instid0(VALU_DEP_3) | instskip(NEXT) | instid1(VALU_DEP_4)
	v_add_f32_e32 v207, v207, v173
	v_fmamk_f32 v235, v87, 0xbf7e222b, v232
	v_dual_mul_f32 v199, 0x3df6dbef, v82 :: v_dual_fmac_f32 v214, 0x3df6dbef, v4
	s_delay_alu instid0(VALU_DEP_4) | instskip(SKIP_4) | instid1(VALU_DEP_2)
	v_add_f32_e32 v145, v153, v145
	v_add_f32_e32 v153, v191, v160
	;; [unrolled: 1-line block ×3, first 2 shown]
	v_dual_sub_f32 v160, v146, v184 :: v_dual_add_f32 v151, v159, v151
	v_dual_sub_f32 v159, v167, v198 :: v_dual_mul_f32 v218, 0x3f52af12, v87
	v_dual_mul_f32 v229, 0x3f52af12, v93 :: v_dual_add_f32 v140, v160, v140
	v_add_f32_e32 v174, v235, v222
	v_fma_f32 v211, 0xbf788fa5, v138, -v211
	v_mul_f32_e32 v203, 0xbf788fa5, v82
	v_add_f32_e32 v210, v214, v210
	v_add_f32_e32 v140, v150, v140
	v_sub_f32_e32 v150, v156, v196
	v_add_f32_e32 v176, v211, v207
	v_add_f32_e32 v151, v159, v151
	v_dual_sub_f32 v159, v169, v204 :: v_dual_sub_f32 v136, v136, v182
	v_fma_f32 v207, 0x3f62ad3f, v139, -v215
	v_add_f32_e32 v140, v150, v140
	v_add_f32_e32 v128, v179, v128
	s_delay_alu instid0(VALU_DEP_4)
	v_add_f32_e32 v151, v159, v151
	v_sub_f32_e32 v159, v170, v218
	v_fmac_f32_e32 v217, 0x3f116cb1, v76
	v_add_f32_e32 v176, v207, v176
	v_dual_add_f32 v128, v72, v128 :: v_dual_add_f32 v143, v183, v143
	v_add_f32_e32 v94, v177, v94
	s_delay_alu instid0(VALU_DEP_4) | instskip(SKIP_4) | instid1(VALU_DEP_4)
	v_dual_add_f32 v146, v159, v151 :: v_dual_add_f32 v207, v217, v210
	v_sub_f32_e32 v117, v117, v178
	v_dual_mul_f32 v197, 0x3df6dbef, v78 :: v_dual_fmamk_f32 v222, v86, 0x3df6dbef, v236
	v_dual_fmac_f32 v225, 0xbeb58ec6, v86 :: v_dual_add_f32 v128, v143, v128
	v_add_f32_e32 v143, v189, v148
	v_add_f32_e32 v117, v73, v117
	v_dual_mul_f32 v201, 0x3f116cb1, v82 :: v_dual_fmamk_f32 v228, v78, 0x3f116cb1, v229
	v_add_f32_e32 v164, v219, v207
	v_add_f32_e32 v151, v203, v166
	v_sub_f32_e32 v148, v161, v202
	v_add_f32_e32 v128, v143, v128
	v_add_f32_e32 v143, v195, v154
	;; [unrolled: 1-line block ×4, first 2 shown]
	v_dual_add_f32 v117, v136, v117 :: v_dual_sub_f32 v136, v141, v188
	v_add_f32_e32 v164, v216, v164
	v_dual_add_f32 v128, v143, v128 :: v_dual_add_f32 v143, v201, v157
	v_add_f32_e32 v94, v72, v94
	s_delay_alu instid0(VALU_DEP_4) | instskip(NEXT) | instid1(VALU_DEP_3)
	v_dual_add_f32 v117, v136, v117 :: v_dual_sub_f32 v136, v147, v194
	v_dual_add_f32 v145, v153, v145 :: v_dual_add_f32 v128, v143, v128
	v_add_f32_e32 v175, v225, v164
	v_add_f32_e32 v126, v181, v126
	s_delay_alu instid0(VALU_DEP_3) | instskip(SKIP_1) | instid1(VALU_DEP_3)
	v_dual_add_f32 v140, v148, v140 :: v_dual_add_f32 v145, v151, v145
	v_dual_add_f32 v151, v212, v168 :: v_dual_sub_f32 v148, v165, v209
	v_add_f32_e32 v94, v126, v94
	v_dual_add_f32 v126, v187, v137 :: v_dual_mul_f32 v127, 0x3df6dbef, v127
	v_add_f32_e32 v137, v208, v162
	s_delay_alu instid0(VALU_DEP_4) | instskip(NEXT) | instid1(VALU_DEP_3)
	v_add_f32_e32 v145, v151, v145
	v_dual_add_f32 v119, v72, v119 :: v_dual_add_f32 v94, v126, v94
	v_add_f32_e32 v126, v193, v144
	v_mul_f32_e32 v138, 0xbeb58ec6, v138
	v_mul_f32_e32 v81, 0xbeedf032, v81
	s_delay_alu instid0(VALU_DEP_4) | instskip(NEXT) | instid1(VALU_DEP_4)
	v_dual_add_f32 v119, v120, v119 :: v_dual_mul_f32 v90, 0xbf7e222b, v90
	v_dual_add_f32 v94, v126, v94 :: v_dual_mul_f32 v91, 0x3f62ad3f, v91
	v_add_f32_e32 v141, v148, v140
	s_delay_alu instid0(VALU_DEP_3) | instskip(NEXT) | instid1(VALU_DEP_3)
	v_dual_add_f32 v140, v137, v128 :: v_dual_add_f32 v23, v23, v119
	v_dual_add_f32 v213, v228, v213 :: v_dual_fmamk_f32 v128, v5, 0x3eedf032, v91
	v_fmamk_f32 v228, v82, 0xbeb58ec6, v234
	v_fma_f32 v186, 0xbeb58ec6, v142, -v220
	s_delay_alu instid0(VALU_DEP_4) | instskip(SKIP_3) | instid1(VALU_DEP_4)
	v_add_f32_e32 v23, v74, v23
	v_fmac_f32_e32 v224, 0x3eedf032, v7
	v_dual_add_f32 v126, v73, v128 :: v_dual_add_f32 v117, v136, v117
	v_dual_sub_f32 v136, v152, v200 :: v_dual_mul_f32 v137, 0x3f116cb1, v95
	v_dual_add_f32 v22, v22, v23 :: v_dual_mul_f32 v23, 0xbf6f5d39, v93
	s_delay_alu instid0(VALU_DEP_2) | instskip(SKIP_1) | instid1(VALU_DEP_4)
	v_dual_add_f32 v176, v186, v176 :: v_dual_add_f32 v95, v136, v117
	v_add_f32_e32 v117, v199, v149
	v_fmamk_f32 v128, v7, 0x3f52af12, v137
	v_sub_f32_e32 v136, v158, v206
	v_dual_add_f32 v22, v13, v22 :: v_dual_add_f32 v213, v228, v213
	s_delay_alu instid0(VALU_DEP_4) | instskip(NEXT) | instid1(VALU_DEP_4)
	v_add_f32_e32 v94, v117, v94
	v_dual_add_f32 v117, v205, v155 :: v_dual_add_f32 v126, v128, v126
	s_delay_alu instid0(VALU_DEP_4) | instskip(NEXT) | instid1(VALU_DEP_4)
	v_add_f32_e32 v95, v136, v95
	v_dual_add_f32 v12, v12, v22 :: v_dual_fmac_f32 v137, 0xbf52af12, v7
	s_delay_alu instid0(VALU_DEP_3) | instskip(SKIP_2) | instid1(VALU_DEP_4)
	v_add_f32_e32 v94, v117, v94
	v_add_f32_e32 v117, v125, v73
	v_fmamk_f32 v128, v77, 0x3f7e222b, v127
	v_add_f32_e32 v12, v14, v12
	v_fma_f32 v7, 0x3f116cb1, v78, -v229
	v_add_f32_e32 v173, v222, v213
	v_add_f32_e32 v92, v92, v117
	s_delay_alu instid0(VALU_DEP_4) | instskip(NEXT) | instid1(VALU_DEP_2)
	v_dual_fmac_f32 v232, 0x3f7e222b, v87 :: v_dual_add_f32 v3, v3, v12
	v_dual_add_f32 v75, v75, v92 :: v_dual_fmamk_f32 v92, v0, 0x3f62ad3f, v81
	s_delay_alu instid0(VALU_DEP_2) | instskip(SKIP_1) | instid1(VALU_DEP_3)
	v_add_f32_e32 v3, v9, v3
	v_fma_f32 v9, 0xbf788fa5, v0, -v226
	v_add_f32_e32 v75, v88, v75
	v_dual_add_f32 v125, v128, v126 :: v_dual_fmamk_f32 v126, v79, 0x3f6f5d39, v138
	v_dual_add_f32 v88, v72, v92 :: v_dual_mul_f32 v85, 0xbf52af12, v85
	s_delay_alu instid0(VALU_DEP_3) | instskip(NEXT) | instid1(VALU_DEP_3)
	v_dual_add_f32 v74, v89, v75 :: v_dual_fmamk_f32 v89, v76, 0x3df6dbef, v90
	v_dual_mul_f32 v128, 0xbf3f9e67, v139 :: v_dual_add_f32 v117, v126, v125
	s_delay_alu instid0(VALU_DEP_2) | instskip(SKIP_2) | instid1(VALU_DEP_3)
	v_dual_fmamk_f32 v92, v4, 0x3f116cb1, v85 :: v_dual_add_f32 v15, v15, v74
	v_dual_add_f32 v3, v6, v3 :: v_dual_add_f32 v6, v72, v9
	v_fma_f32 v9, 0x3f62ad3f, v4, -v230
	v_dual_fmamk_f32 v125, v83, 0x3f29c268, v128 :: v_dual_add_f32 v88, v92, v88
	s_delay_alu instid0(VALU_DEP_4) | instskip(NEXT) | instid1(VALU_DEP_4)
	v_add_f32_e32 v15, v84, v15
	v_add_f32_e32 v1, v1, v3
	s_delay_alu instid0(VALU_DEP_4)
	v_dual_add_f32 v3, v9, v6 :: v_dual_fmac_f32 v138, 0xbf6f5d39, v79
	v_fma_f32 v6, 0xbf3f9e67, v76, -v233
	v_fmac_f32_e32 v91, 0xbeedf032, v5
	v_dual_add_f32 v117, v125, v117 :: v_dual_fmamk_f32 v84, v78, 0xbeb58ec6, v23
	v_dual_add_f32 v88, v89, v88 :: v_dual_mul_f32 v75, 0xbf788fa5, v142
	v_dual_fmac_f32 v223, 0xbf29c268, v77 :: v_dual_fmac_f32 v128, 0xbf29c268, v83
	v_add_f32_e32 v3, v6, v3
	v_add_f32_e32 v6, v73, v91
	;; [unrolled: 1-line block ×4, first 2 shown]
	v_fmamk_f32 v74, v87, 0x3e750f2a, v75
	v_mul_f32_e32 v80, 0xbe750f2a, v135
	v_fma_f32 v0, 0x3f62ad3f, v0, -v81
	v_add_f32_e32 v11, v11, v15
	v_mul_f32_e32 v89, 0xbf29c268, v118
	v_add_f32_e32 v13, v74, v117
	s_delay_alu instid0(VALU_DEP_4) | instskip(NEXT) | instid1(VALU_DEP_4)
	v_dual_fmamk_f32 v15, v86, 0xbf788fa5, v80 :: v_dual_add_f32 v0, v72, v0
	v_add_f32_e32 v10, v10, v11
	s_delay_alu instid0(VALU_DEP_4) | instskip(SKIP_2) | instid1(VALU_DEP_4)
	v_fmamk_f32 v74, v82, 0xbf3f9e67, v89
	v_fma_f32 v4, 0x3f116cb1, v4, -v85
	v_fmac_f32_e32 v75, 0xbe750f2a, v87
	v_dual_fmac_f32 v127, 0xbf7e222b, v77 :: v_dual_add_f32 v8, v8, v10
	s_delay_alu instid0(VALU_DEP_4) | instskip(NEXT) | instid1(VALU_DEP_4)
	v_dual_add_f32 v14, v74, v22 :: v_dual_fmac_f32 v221, 0xbe750f2a, v5
	v_add_f32_e32 v0, v4, v0
	v_fma_f32 v4, 0x3df6dbef, v76, -v90
	s_delay_alu instid0(VALU_DEP_4) | instskip(NEXT) | instid1(VALU_DEP_4)
	v_add_f32_e32 v2, v2, v8
	v_dual_add_f32 v12, v15, v14 :: v_dual_add_f32 v11, v73, v221
	v_fma_f32 v9, 0xbf788fa5, v86, -v80
	s_delay_alu instid0(VALU_DEP_4) | instskip(SKIP_3) | instid1(VALU_DEP_3)
	v_add_f32_e32 v0, v4, v0
	v_fma_f32 v4, 0xbeb58ec6, v78, -v23
	v_fmac_f32_e32 v231, 0xbf6f5d39, v83
	v_add_f32_e32 v10, v224, v11
	v_add_f32_e32 v0, v4, v0
	v_fma_f32 v4, 0xbf3f9e67, v82, -v89
	s_delay_alu instid0(VALU_DEP_3) | instskip(NEXT) | instid1(VALU_DEP_2)
	v_add_f32_e32 v8, v223, v10
	v_add_f32_e32 v0, v4, v0
	v_dual_add_f32 v6, v137, v6 :: v_dual_fmac_f32 v227, 0x3f52af12, v79
	s_delay_alu instid0(VALU_DEP_1) | instskip(NEXT) | instid1(VALU_DEP_2)
	v_add_f32_e32 v6, v127, v6
	v_add_f32_e32 v5, v227, v8
	v_fma_f32 v8, 0x3df6dbef, v86, -v236
	s_delay_alu instid0(VALU_DEP_2) | instskip(NEXT) | instid1(VALU_DEP_1)
	v_dual_add_f32 v6, v138, v6 :: v_dual_add_f32 v5, v231, v5
	v_dual_add_f32 v6, v128, v6 :: v_dual_add_f32 v3, v7, v3
	s_delay_alu instid0(VALU_DEP_2) | instskip(SKIP_1) | instid1(VALU_DEP_3)
	v_add_f32_e32 v4, v232, v5
	v_fma_f32 v7, 0xbeb58ec6, v82, -v234
	v_dual_add_f32 v5, v9, v0 :: v_dual_add_f32 v6, v75, v6
	s_delay_alu instid0(VALU_DEP_2) | instskip(SKIP_1) | instid1(VALU_DEP_2)
	v_add_f32_e32 v3, v7, v3
	v_mul_u32_u24_e32 v7, 26, v124
	v_add_f32_e32 v3, v8, v3
	s_delay_alu instid0(VALU_DEP_2) | instskip(NEXT) | instid1(VALU_DEP_1)
	v_or_b32_e32 v7, v7, v123
	v_lshlrev_b32_e32 v7, 3, v7
	ds_store_2addr_b64 v7, v[1:2], v[12:13] offset1:2
	ds_store_2addr_b64 v7, v[94:95], v[140:141] offset0:4 offset1:6
	ds_store_2addr_b64 v7, v[145:146], v[175:176] offset0:8 offset1:10
	;; [unrolled: 1-line block ×5, first 2 shown]
	ds_store_b64 v7, v[5:6] offset:192
.LBB0_17:
	s_wait_alu 0xfffe
	s_or_b32 exec_lo, exec_lo, s1
	v_add_nc_u32_e32 v0, 0x600, v122
	v_add_nc_u32_e32 v8, 0x1800, v122
	;; [unrolled: 1-line block ×3, first 2 shown]
	global_wb scope:SCOPE_SE
	s_wait_dscnt 0x0
	s_barrier_signal -1
	s_barrier_wait -1
	global_inv scope:SCOPE_SE
	ds_load_2addr_b64 v[4:7], v122 offset1:117
	ds_load_2addr_b64 v[0:3], v0 offset0:42 offset1:198
	ds_load_2addr_b64 v[12:15], v8 offset0:12 offset1:129
	ds_load_2addr_b64 v[8:11], v9 offset0:123 offset1:240
	ds_load_b64 v[22:23], v122 offset:8112
	s_and_saveexec_b32 s0, vcc_lo
	s_cbranch_execz .LBB0_19
; %bb.18:
	ds_load_b64 v[16:17], v122 offset:2808
	ds_load_b64 v[20:21], v122 offset:5928
	ds_load_b64 v[18:19], v122 offset:9048
.LBB0_19:
	s_wait_alu 0xfffe
	s_or_b32 exec_lo, exec_lo, s0
	s_wait_dscnt 0x2
	v_dual_mul_f32 v72, v37, v3 :: v_dual_mul_f32 v73, v39, v13
	v_mul_f32_e32 v37, v37, v2
	v_mul_f32_e32 v39, v39, v12
	global_wb scope:SCOPE_SE
	s_wait_dscnt 0x0
	v_dual_fmac_f32 v72, v36, v2 :: v_dual_fmac_f32 v73, v38, v12
	v_fma_f32 v36, v36, v3, -v37
	v_mul_f32_e32 v37, v33, v9
	v_fma_f32 v12, v38, v13, -v39
	v_dual_mul_f32 v2, v33, v8 :: v_dual_mul_f32 v33, v35, v15
	v_mul_f32_e32 v3, v35, v14
	v_mul_f32_e32 v35, v29, v11
	s_barrier_signal -1
	s_barrier_wait -1
	v_fmac_f32_e32 v33, v34, v14
	v_fma_f32 v15, v34, v15, -v3
	v_dual_mul_f32 v3, v29, v10 :: v_dual_sub_f32 v14, v36, v12
	v_fmac_f32_e32 v35, v28, v10
	v_dual_mul_f32 v10, v27, v18 :: v_dual_fmac_f32 v37, v32, v8
	v_fma_f32 v32, v32, v9, -v2
	v_dual_mul_f32 v8, v31, v22 :: v_dual_add_f32 v9, v72, v73
	v_mul_f32_e32 v29, v31, v23
	v_fma_f32 v31, v28, v11, -v3
	v_mul_f32_e32 v3, v25, v20
	v_add_f32_e32 v11, v4, v72
	v_fma_f32 v9, -0.5, v9, v4
	v_fma_f32 v4, v26, v19, -v10
	v_add_f32_e32 v10, v36, v12
	v_mul_f32_e32 v2, v25, v21
	global_inv scope:SCOPE_SE
	v_fmamk_f32 v13, v14, 0xbf5db3d7, v9
	v_dual_fmac_f32 v9, 0x3f5db3d7, v14 :: v_dual_add_f32 v14, v37, v33
	v_fma_f32 v10, -0.5, v10, v5
	v_fmac_f32_e32 v29, v30, v22
	v_fma_f32 v30, v30, v23, -v8
	v_fma_f32 v8, v24, v21, -v3
	v_dual_mul_f32 v3, v27, v19 :: v_dual_fmac_f32 v2, v24, v20
	s_delay_alu instid0(VALU_DEP_2) | instskip(NEXT) | instid1(VALU_DEP_2)
	v_sub_f32_e32 v21, v8, v4
	v_dual_fmac_f32 v3, v26, v18 :: v_dual_add_f32 v18, v5, v36
	s_delay_alu instid0(VALU_DEP_1) | instskip(SKIP_2) | instid1(VALU_DEP_2)
	v_dual_sub_f32 v19, v32, v15 :: v_dual_add_f32 v12, v18, v12
	v_add_f32_e32 v18, v6, v37
	v_fma_f32 v6, -0.5, v14, v6
	v_add_f32_e32 v22, v18, v33
	v_add_f32_e32 v18, v7, v32
	s_delay_alu instid0(VALU_DEP_3) | instskip(SKIP_1) | instid1(VALU_DEP_3)
	v_fmamk_f32 v24, v19, 0xbf5db3d7, v6
	v_fmac_f32_e32 v6, 0x3f5db3d7, v19
	v_dual_add_f32 v23, v18, v15 :: v_dual_sub_f32 v18, v31, v30
	v_sub_f32_e32 v5, v72, v73
	s_delay_alu instid0(VALU_DEP_1) | instskip(SKIP_4) | instid1(VALU_DEP_3)
	v_fmamk_f32 v14, v5, 0x3f5db3d7, v10
	v_fmac_f32_e32 v10, 0xbf5db3d7, v5
	v_add_f32_e32 v19, v35, v29
	v_add_f32_e32 v5, v32, v15
	;; [unrolled: 1-line block ×3, first 2 shown]
	v_fma_f32 v0, -0.5, v19, v0
	v_add_f32_e32 v11, v11, v73
	s_delay_alu instid0(VALU_DEP_3) | instskip(NEXT) | instid1(VALU_DEP_3)
	v_add_f32_e32 v26, v15, v29
	v_dual_add_f32 v15, v31, v30 :: v_dual_fmamk_f32 v28, v18, 0xbf5db3d7, v0
	v_fmac_f32_e32 v0, 0x3f5db3d7, v18
	v_add_f32_e32 v18, v2, v3
	s_delay_alu instid0(VALU_DEP_1) | instskip(NEXT) | instid1(VALU_DEP_1)
	v_fma_f32 v18, -0.5, v18, v16
	v_fmamk_f32 v20, v21, 0xbf5db3d7, v18
	v_fmac_f32_e32 v18, 0x3f5db3d7, v21
	v_fmac_f32_e32 v7, -0.5, v5
	v_sub_f32_e32 v5, v37, v33
	s_delay_alu instid0(VALU_DEP_1) | instskip(SKIP_4) | instid1(VALU_DEP_3)
	v_fmamk_f32 v25, v5, 0x3f5db3d7, v7
	v_fmac_f32_e32 v7, 0xbf5db3d7, v5
	v_add_f32_e32 v5, v1, v31
	v_fmac_f32_e32 v1, -0.5, v15
	v_sub_f32_e32 v15, v35, v29
	v_add_f32_e32 v27, v5, v30
	v_add_f32_e32 v5, v8, v4
	s_delay_alu instid0(VALU_DEP_3)
	v_fmamk_f32 v29, v15, 0x3f5db3d7, v1
	v_fmac_f32_e32 v1, 0xbf5db3d7, v15
	ds_store_2addr_b64 v132, v[11:12], v[13:14] offset1:26
	ds_store_b64 v132, v[9:10] offset:416
	ds_store_2addr_b64 v131, v[22:23], v[24:25] offset1:26
	ds_store_b64 v131, v[6:7] offset:416
	;; [unrolled: 2-line block ×3, first 2 shown]
	v_fma_f32 v19, -0.5, v5, v17
	v_sub_f32_e32 v5, v2, v3
	s_delay_alu instid0(VALU_DEP_1)
	v_fmamk_f32 v21, v5, 0x3f5db3d7, v19
	v_fmac_f32_e32 v19, 0xbf5db3d7, v5
	s_and_saveexec_b32 s0, vcc_lo
	s_cbranch_execz .LBB0_21
; %bb.20:
	v_dual_add_f32 v0, v17, v8 :: v_dual_and_b32 v5, 0xffff, v129
	v_add_f32_e32 v2, v16, v2
	s_delay_alu instid0(VALU_DEP_1) | instskip(NEXT) | instid1(VALU_DEP_3)
	v_dual_add_f32 v1, v0, v4 :: v_dual_add_f32 v0, v2, v3
	v_lshlrev_b32_e32 v2, 3, v5
	ds_store_2addr_b64 v2, v[0:1], v[20:21] offset1:26
	ds_store_b64 v2, v[18:19] offset:416
.LBB0_21:
	s_wait_alu 0xfffe
	s_or_b32 exec_lo, exec_lo, s0
	v_add_nc_u32_e32 v0, 0x400, v122
	global_wb scope:SCOPE_SE
	s_wait_dscnt 0x0
	s_barrier_signal -1
	s_barrier_wait -1
	global_inv scope:SCOPE_SE
	ds_load_2addr_b64 v[0:3], v0 offset0:106 offset1:223
	v_add_nc_u32_e32 v24, 0xc00, v122
	v_add_nc_u32_e32 v8, 0x1400, v122
	s_wait_dscnt 0x0
	v_dual_mul_f32 v17, v49, v0 :: v_dual_add_nc_u32 v12, 0x1c00, v122
	ds_load_2addr_b64 v[4:7], v24 offset0:84 offset1:201
	ds_load_2addr_b64 v[8:11], v8 offset0:62 offset1:179
	;; [unrolled: 1-line block ×3, first 2 shown]
	ds_load_2addr_b64 v[25:28], v122 offset1:117
	v_mul_f32_e32 v16, v49, v1
	global_wb scope:SCOPE_SE
	s_wait_dscnt 0x0
	s_barrier_signal -1
	v_fma_f32 v17, v48, v1, -v17
	s_barrier_wait -1
	global_inv scope:SCOPE_SE
	v_mul_f32_e32 v33, v57, v3
	s_delay_alu instid0(VALU_DEP_1)
	v_fmac_f32_e32 v33, v56, v2
	v_mul_f32_e32 v35, v59, v7
	v_mul_f32_e32 v22, v51, v5
	;; [unrolled: 1-line block ×4, first 2 shown]
	v_dual_mul_f32 v30, v45, v8 :: v_dual_mul_f32 v31, v47, v13
	v_dual_mul_f32 v32, v47, v12 :: v_dual_fmac_f32 v35, v58, v6
	s_delay_alu instid0(VALU_DEP_3)
	v_dual_mul_f32 v34, v57, v2 :: v_dual_fmac_f32 v29, v44, v8
	v_dual_fmac_f32 v16, v48, v0 :: v_dual_mul_f32 v1, v41, v10
	v_fma_f32 v23, v50, v5, -v23
	v_fma_f32 v30, v44, v9, -v30
	v_fmac_f32_e32 v22, v50, v4
	v_dual_fmac_f32 v31, v46, v12 :: v_dual_mul_f32 v0, v59, v6
	v_fma_f32 v12, v46, v13, -v32
	s_delay_alu instid0(VALU_DEP_4) | instskip(SKIP_1) | instid1(VALU_DEP_4)
	v_dual_add_f32 v2, v25, v16 :: v_dual_sub_f32 v5, v23, v30
	v_fma_f32 v13, v56, v3, -v34
	v_fma_f32 v32, v58, v7, -v0
	v_dual_add_f32 v7, v16, v31 :: v_dual_add_f32 v0, v22, v29
	v_sub_f32_e32 v3, v17, v12
	v_mul_f32_e32 v34, v41, v11
	v_fma_f32 v37, v40, v11, -v1
	v_add_f32_e32 v1, v2, v22
	v_fma_f32 v0, -0.5, v0, v25
	v_mul_f32_e32 v36, v43, v15
	v_fmac_f32_e32 v34, v40, v10
	s_delay_alu instid0(VALU_DEP_4)
	v_dual_sub_f32 v4, v16, v22 :: v_dual_add_f32 v1, v1, v29
	v_add_f32_e32 v10, v26, v17
	v_sub_f32_e32 v6, v31, v29
	v_fmamk_f32 v2, v3, 0xbf737871, v0
	v_fmac_f32_e32 v36, v42, v14
	v_dual_add_f32 v11, v23, v30 :: v_dual_fmac_f32 v0, 0x3f737871, v3
	s_delay_alu instid0(VALU_DEP_3) | instskip(SKIP_2) | instid1(VALU_DEP_4)
	v_dual_add_f32 v9, v4, v6 :: v_dual_fmac_f32 v2, 0xbf167918, v5
	v_fma_f32 v4, -0.5, v7, v25
	v_dual_add_f32 v6, v1, v31 :: v_dual_sub_f32 v1, v22, v16
	v_dual_sub_f32 v7, v29, v31 :: v_dual_fmac_f32 v0, 0x3f167918, v5
	s_delay_alu instid0(VALU_DEP_1) | instskip(SKIP_4) | instid1(VALU_DEP_3)
	v_dual_fmac_f32 v2, 0x3e9e377a, v9 :: v_dual_add_f32 v7, v1, v7
	v_fma_f32 v1, -0.5, v11, v26
	v_mul_f32_e32 v8, v43, v14
	v_dual_sub_f32 v14, v17, v23 :: v_dual_sub_f32 v11, v22, v29
	v_dual_sub_f32 v22, v36, v34 :: v_dual_sub_f32 v29, v33, v36
	v_fma_f32 v25, v42, v15, -v8
	v_dual_fmamk_f32 v8, v5, 0x3f737871, v4 :: v_dual_sub_f32 v15, v12, v30
	v_dual_fmac_f32 v4, 0xbf737871, v5 :: v_dual_add_f32 v5, v10, v23
	s_delay_alu instid0(VALU_DEP_2) | instskip(NEXT) | instid1(VALU_DEP_3)
	v_fmac_f32_e32 v8, 0xbf167918, v3
	v_add_f32_e32 v14, v14, v15
	s_delay_alu instid0(VALU_DEP_3) | instskip(SKIP_1) | instid1(VALU_DEP_4)
	v_dual_fmac_f32 v0, 0x3e9e377a, v9 :: v_dual_add_f32 v9, v5, v30
	v_add_f32_e32 v5, v17, v12
	v_dual_sub_f32 v15, v23, v17 :: v_dual_fmac_f32 v8, 0x3e9e377a, v7
	v_sub_f32_e32 v17, v32, v37
	v_add_f32_e32 v23, v33, v36
	s_delay_alu instid0(VALU_DEP_4) | instskip(SKIP_4) | instid1(VALU_DEP_3)
	v_fma_f32 v5, -0.5, v5, v26
	v_sub_f32_e32 v10, v16, v31
	v_fmac_f32_e32 v4, 0x3f167918, v3
	v_add_f32_e32 v16, v35, v34
	v_add_f32_e32 v26, v28, v13
	v_dual_sub_f32 v31, v37, v25 :: v_dual_fmac_f32 v4, 0x3e9e377a, v7
	v_add_f32_e32 v7, v9, v12
	v_fmamk_f32 v9, v11, 0xbf737871, v5
	v_fmamk_f32 v3, v10, 0x3f737871, v1
	v_dual_fmac_f32 v1, 0xbf737871, v10 :: v_dual_sub_f32 v12, v30, v12
	v_fmac_f32_e32 v5, 0x3f737871, v11
	v_fma_f32 v16, -0.5, v16, v27
	s_delay_alu instid0(VALU_DEP_4) | instskip(NEXT) | instid1(VALU_DEP_4)
	v_fmac_f32_e32 v3, 0x3f167918, v11
	v_fmac_f32_e32 v1, 0xbf167918, v11
	v_add_f32_e32 v11, v27, v33
	v_dual_fmac_f32 v5, 0xbf167918, v10 :: v_dual_add_f32 v12, v15, v12
	v_sub_f32_e32 v15, v13, v25
	s_delay_alu instid0(VALU_DEP_4)
	v_fmac_f32_e32 v1, 0x3e9e377a, v14
	v_fmac_f32_e32 v3, 0x3e9e377a, v14
	;; [unrolled: 1-line block ×3, first 2 shown]
	v_add_f32_e32 v11, v11, v35
	v_fmamk_f32 v10, v15, 0xbf737871, v16
	v_sub_f32_e32 v14, v33, v35
	v_fmac_f32_e32 v16, 0x3f737871, v15
	v_fma_f32 v27, -0.5, v23, v27
	s_delay_alu instid0(VALU_DEP_4)
	v_dual_add_f32 v11, v11, v34 :: v_dual_fmac_f32 v10, 0xbf167918, v17
	v_sub_f32_e32 v23, v34, v36
	v_dual_add_f32 v14, v14, v22 :: v_dual_fmac_f32 v5, 0x3e9e377a, v12
	v_fmac_f32_e32 v16, 0x3f167918, v17
	v_fmac_f32_e32 v9, 0x3e9e377a, v12
	v_dual_add_f32 v12, v11, v36 :: v_dual_add_f32 v11, v32, v37
	s_delay_alu instid0(VALU_DEP_4) | instskip(NEXT) | instid1(VALU_DEP_4)
	v_fmac_f32_e32 v10, 0x3e9e377a, v14
	v_fmac_f32_e32 v16, 0x3e9e377a, v14
	v_fmamk_f32 v14, v17, 0x3f737871, v27
	v_fmac_f32_e32 v27, 0xbf737871, v17
	v_sub_f32_e32 v22, v35, v33
	v_fma_f32 v17, -0.5, v11, v28
	s_delay_alu instid0(VALU_DEP_3) | instskip(NEXT) | instid1(VALU_DEP_3)
	v_fmac_f32_e32 v27, 0x3f167918, v15
	v_dual_add_f32 v22, v22, v23 :: v_dual_add_f32 v23, v13, v25
	s_delay_alu instid0(VALU_DEP_3) | instskip(NEXT) | instid1(VALU_DEP_2)
	v_fmamk_f32 v11, v29, 0x3f737871, v17
	v_dual_fmac_f32 v17, 0xbf737871, v29 :: v_dual_fmac_f32 v28, -0.5, v23
	v_sub_f32_e32 v23, v13, v32
	v_dual_sub_f32 v13, v32, v13 :: v_dual_fmac_f32 v14, 0xbf167918, v15
	v_dual_add_f32 v15, v26, v32 :: v_dual_sub_f32 v26, v35, v34
	v_fmac_f32_e32 v27, 0x3e9e377a, v22
	s_delay_alu instid0(VALU_DEP_3) | instskip(NEXT) | instid1(VALU_DEP_3)
	v_fmac_f32_e32 v14, 0x3e9e377a, v22
	v_dual_add_f32 v22, v15, v37 :: v_dual_fmac_f32 v11, 0x3f167918, v26
	v_dual_sub_f32 v30, v25, v37 :: v_dual_fmamk_f32 v15, v26, 0xbf737871, v28
	v_fmac_f32_e32 v28, 0x3f737871, v26
	v_dual_fmac_f32 v17, 0xbf167918, v26 :: v_dual_add_f32 v26, v13, v31
	s_delay_alu instid0(VALU_DEP_3) | instskip(NEXT) | instid1(VALU_DEP_4)
	v_add_f32_e32 v23, v23, v30
	v_fmac_f32_e32 v15, 0x3f167918, v29
	s_delay_alu instid0(VALU_DEP_4) | instskip(SKIP_1) | instid1(VALU_DEP_4)
	v_fmac_f32_e32 v28, 0xbf167918, v29
	v_add_f32_e32 v13, v22, v25
	v_fmac_f32_e32 v11, 0x3e9e377a, v23
	s_delay_alu instid0(VALU_DEP_4) | instskip(NEXT) | instid1(VALU_DEP_4)
	v_fmac_f32_e32 v15, 0x3e9e377a, v26
	v_dual_fmac_f32 v28, 0x3e9e377a, v26 :: v_dual_fmac_f32 v17, 0x3e9e377a, v23
	ds_store_2addr_b64 v134, v[6:7], v[2:3] offset1:78
	ds_store_2addr_b64 v134, v[8:9], v[4:5] offset0:156 offset1:234
	ds_store_b64 v134, v[0:1] offset:2496
	ds_store_2addr_b64 v133, v[12:13], v[10:11] offset1:78
	ds_store_2addr_b64 v133, v[14:15], v[27:28] offset0:156 offset1:234
	ds_store_b64 v133, v[16:17] offset:2496
	v_add_nc_u32_e32 v0, 0x600, v122
	v_add_nc_u32_e32 v8, 0x1800, v122
	global_wb scope:SCOPE_SE
	s_wait_dscnt 0x0
	s_barrier_signal -1
	s_barrier_wait -1
	global_inv scope:SCOPE_SE
	ds_load_2addr_b64 v[4:7], v122 offset1:117
	ds_load_2addr_b64 v[0:3], v0 offset0:42 offset1:198
	ds_load_2addr_b64 v[12:15], v8 offset0:12 offset1:129
	;; [unrolled: 1-line block ×3, first 2 shown]
	ds_load_b64 v[22:23], v122 offset:8112
	s_and_saveexec_b32 s0, vcc_lo
	s_cbranch_execz .LBB0_23
; %bb.22:
	ds_load_b64 v[16:17], v122 offset:2808
	ds_load_b64 v[20:21], v122 offset:5928
	;; [unrolled: 1-line block ×3, first 2 shown]
.LBB0_23:
	s_wait_alu 0xfffe
	s_or_b32 exec_lo, exec_lo, s0
	s_wait_dscnt 0x2
	v_dual_mul_f32 v25, v69, v3 :: v_dual_mul_f32 v28, v71, v12
	v_dual_mul_f32 v26, v69, v2 :: v_dual_mul_f32 v27, v71, v13
	s_wait_dscnt 0x1
	v_mul_f32_e32 v29, v61, v11
	s_delay_alu instid0(VALU_DEP_3) | instskip(NEXT) | instid1(VALU_DEP_3)
	v_dual_fmac_f32 v25, v68, v2 :: v_dual_mul_f32 v2, v65, v8
	v_fma_f32 v3, v68, v3, -v26
	v_dual_mul_f32 v26, v65, v9 :: v_dual_fmac_f32 v27, v70, v12
	v_fma_f32 v12, v70, v13, -v28
	v_mul_f32_e32 v13, v67, v15
	v_fma_f32 v28, v64, v9, -v2
	s_delay_alu instid0(VALU_DEP_4)
	v_fmac_f32_e32 v26, v64, v8
	v_mul_f32_e32 v8, v67, v14
	v_mul_f32_e32 v2, v61, v10
	v_fmac_f32_e32 v13, v66, v14
	v_add_f32_e32 v9, v4, v25
	v_fmac_f32_e32 v29, v60, v10
	v_fma_f32 v14, v66, v15, -v8
	s_wait_dscnt 0x0
	v_mul_f32_e32 v15, v63, v23
	v_mul_f32_e32 v8, v63, v22
	v_fma_f32 v30, v60, v11, -v2
	v_add_f32_e32 v2, v25, v27
	s_delay_alu instid0(VALU_DEP_4) | instskip(NEXT) | instid1(VALU_DEP_4)
	v_dual_sub_f32 v10, v3, v12 :: v_dual_fmac_f32 v15, v62, v22
	v_fma_f32 v23, v62, v23, -v8
	v_add_f32_e32 v8, v3, v12
	s_delay_alu instid0(VALU_DEP_4)
	v_fma_f32 v2, -0.5, v2, v4
	v_sub_f32_e32 v11, v25, v27
	v_add_f32_e32 v4, v9, v27
	v_add_f32_e32 v9, v5, v3
	v_fma_f32 v3, -0.5, v8, v5
	v_fmamk_f32 v8, v10, 0xbf5db3d7, v2
	v_fmac_f32_e32 v2, 0x3f5db3d7, v10
	s_delay_alu instid0(VALU_DEP_4) | instskip(NEXT) | instid1(VALU_DEP_4)
	v_dual_add_f32 v10, v26, v13 :: v_dual_add_f32 v5, v9, v12
	v_dual_fmamk_f32 v9, v11, 0x3f5db3d7, v3 :: v_dual_add_f32 v12, v6, v26
	v_fmac_f32_e32 v3, 0xbf5db3d7, v11
	v_dual_add_f32 v11, v28, v14 :: v_dual_sub_f32 v26, v26, v13
	s_delay_alu instid0(VALU_DEP_4) | instskip(SKIP_1) | instid1(VALU_DEP_3)
	v_fma_f32 v6, -0.5, v10, v6
	v_dual_sub_f32 v22, v28, v14 :: v_dual_add_f32 v25, v7, v28
	v_dual_add_f32 v10, v12, v13 :: v_dual_fmac_f32 v7, -0.5, v11
	s_delay_alu instid0(VALU_DEP_2) | instskip(NEXT) | instid1(VALU_DEP_3)
	v_dual_add_f32 v27, v1, v30 :: v_dual_fmamk_f32 v12, v22, 0xbf5db3d7, v6
	v_add_f32_e32 v11, v25, v14
	v_add_f32_e32 v14, v29, v15
	s_delay_alu instid0(VALU_DEP_4) | instskip(SKIP_2) | instid1(VALU_DEP_4)
	v_dual_fmac_f32 v6, 0x3f5db3d7, v22 :: v_dual_fmamk_f32 v13, v26, 0x3f5db3d7, v7
	v_dual_add_f32 v22, v30, v23 :: v_dual_add_f32 v25, v0, v29
	v_fmac_f32_e32 v7, 0xbf5db3d7, v26
	v_fma_f32 v0, -0.5, v14, v0
	s_delay_alu instid0(VALU_DEP_3) | instskip(SKIP_2) | instid1(VALU_DEP_3)
	v_dual_sub_f32 v26, v30, v23 :: v_dual_fmac_f32 v1, -0.5, v22
	v_sub_f32_e32 v28, v29, v15
	v_add_f32_e32 v14, v25, v15
	v_dual_add_f32 v15, v27, v23 :: v_dual_fmamk_f32 v22, v26, 0xbf5db3d7, v0
	s_delay_alu instid0(VALU_DEP_3)
	v_dual_fmac_f32 v0, 0x3f5db3d7, v26 :: v_dual_fmamk_f32 v23, v28, 0x3f5db3d7, v1
	v_fmac_f32_e32 v1, 0xbf5db3d7, v28
	ds_store_b64 v122, v[8:9] offset:3120
	ds_store_b64 v122, v[2:3] offset:6240
	ds_store_2addr_b64 v122, v[4:5], v[10:11] offset1:117
	ds_store_b64 v122, v[6:7] offset:7176
	ds_store_b64 v122, v[14:15] offset:1872
	ds_store_2addr_b64 v24, v[12:13], v[22:23] offset0:123 offset1:240
	ds_store_b64 v122, v[0:1] offset:8112
	s_and_saveexec_b32 s0, vcc_lo
	s_cbranch_execz .LBB0_25
; %bb.24:
	v_dual_mul_f32 v0, v53, v20 :: v_dual_mul_f32 v1, v55, v18
	s_delay_alu instid0(VALU_DEP_1) | instskip(SKIP_1) | instid1(VALU_DEP_3)
	v_fma_f32 v0, v52, v21, -v0
	v_mul_f32_e32 v4, v55, v19
	v_fma_f32 v3, v54, v19, -v1
	v_mul_f32_e32 v2, v53, v21
	s_delay_alu instid0(VALU_DEP_3) | instskip(NEXT) | instid1(VALU_DEP_3)
	v_dual_add_f32 v7, v17, v0 :: v_dual_fmac_f32 v4, v54, v18
	v_add_f32_e32 v1, v0, v3
	s_delay_alu instid0(VALU_DEP_3) | instskip(NEXT) | instid1(VALU_DEP_2)
	v_fmac_f32_e32 v2, v52, v20
	v_fma_f32 v1, -0.5, v1, v17
	v_sub_f32_e32 v8, v0, v3
	v_add_f32_e32 v3, v7, v3
	s_delay_alu instid0(VALU_DEP_4) | instskip(SKIP_2) | instid1(VALU_DEP_3)
	v_add_f32_e32 v5, v2, v4
	v_sub_f32_e32 v6, v2, v4
	v_add_f32_e32 v2, v16, v2
	v_fma_f32 v0, -0.5, v5, v16
	s_delay_alu instid0(VALU_DEP_3) | instskip(NEXT) | instid1(VALU_DEP_3)
	v_fmamk_f32 v5, v6, 0xbf5db3d7, v1
	v_dual_add_f32 v2, v2, v4 :: v_dual_fmac_f32 v1, 0x3f5db3d7, v6
	s_delay_alu instid0(VALU_DEP_3)
	v_fmamk_f32 v4, v8, 0x3f5db3d7, v0
	v_fmac_f32_e32 v0, 0xbf5db3d7, v8
	ds_store_b64 v122, v[2:3] offset:2808
	ds_store_b64 v122, v[0:1] offset:5928
	;; [unrolled: 1-line block ×3, first 2 shown]
.LBB0_25:
	s_wait_alu 0xfffe
	s_or_b32 exec_lo, exec_lo, s0
	global_wb scope:SCOPE_SE
	s_wait_dscnt 0x0
	s_barrier_signal -1
	s_barrier_wait -1
	global_inv scope:SCOPE_SE
	ds_load_2addr_b64 v[0:3], v122 offset1:117
	v_add_nc_u32_e32 v4, 0xc00, v122
	v_add_nc_u32_e32 v12, 0x400, v122
	v_mad_co_u64_u32 v[20:21], null, s6, v96, 0
	s_mov_b32 s0, 0x1c01c01c
	s_mov_b32 s1, 0x3f4c01c0
	ds_load_2addr_b64 v[12:15], v12 offset0:106 offset1:223
	s_wait_dscnt 0x1
	v_dual_mul_f32 v23, v114, v0 :: v_dual_add_nc_u32 v8, 0x1400, v122
	ds_load_2addr_b64 v[4:7], v4 offset0:84 offset1:201
	v_add_nc_u32_e32 v16, 0x1c00, v122
	v_fma_f32 v23, v113, v1, -v23
	s_wait_dscnt 0x1
	v_mul_f32_e32 v31, v104, v12
	ds_load_2addr_b64 v[8:11], v8 offset0:62 offset1:179
	v_mul_f32_e32 v30, v104, v13
	v_mul_f32_e32 v34, v106, v15
	s_wait_dscnt 0x1
	s_delay_alu instid0(VALU_DEP_1)
	v_dual_fmac_f32 v34, v105, v14 :: v_dual_mul_f32 v39, v112, v4
	ds_load_2addr_b64 v[16:19], v16 offset0:40 offset1:157
	v_mul_f32_e32 v22, v114, v1
	v_mul_f32_e32 v24, v110, v3
	v_dual_mul_f32 v27, v98, v6 :: v_dual_mul_f32 v38, v112, v5
	v_fma_f32 v39, v111, v5, -v39
	s_wait_dscnt 0x1
	v_mul_f32_e32 v28, v100, v9
	v_mul_f32_e32 v29, v100, v8
	v_fma_f32 v27, v97, v7, -v27
	v_fmac_f32_e32 v38, v111, v4
	v_mad_co_u64_u32 v[4:5], null, s4, v121, 0
	v_dual_mul_f32 v33, v102, v10 :: v_dual_fmac_f32 v28, v99, v8
	v_dual_fmac_f32 v30, v103, v12 :: v_dual_mul_f32 v35, v106, v14
	s_wait_dscnt 0x0
	v_mul_f32_e32 v36, v108, v17
	v_mul_f32_e32 v37, v108, v16
	v_dual_mul_f32 v25, v110, v2 :: v_dual_fmac_f32 v22, v113, v0
	v_mul_f32_e32 v41, v116, v18
	v_fmac_f32_e32 v24, v109, v2
	v_mul_f32_e32 v40, v116, v19
	s_delay_alu instid0(VALU_DEP_4)
	v_fma_f32 v25, v109, v3, -v25
	v_cvt_f64_f32_e32 v[0:1], v22
	v_cvt_f64_f32_e32 v[2:3], v23
	v_fmac_f32_e32 v36, v107, v16
	v_fma_f32 v37, v107, v17, -v37
	v_cvt_f64_f32_e32 v[22:23], v25
	v_fma_f32 v25, v103, v13, -v31
	v_cvt_f64_f32_e32 v[12:13], v27
	v_fmac_f32_e32 v40, v115, v18
	v_fma_f32 v42, v115, v19, -v41
	v_cvt_f64_f32_e32 v[16:17], v30
	v_cvt_f64_f32_e32 v[30:31], v34
	;; [unrolled: 1-line block ×6, first 2 shown]
	s_wait_alu 0xfffe
	v_mul_f64_e32 v[0:1], s[0:1], v[0:1]
	v_mul_f64_e32 v[2:3], s[0:1], v[2:3]
	v_mad_co_u64_u32 v[44:45], null, s7, v96, v[21:22]
	v_mul_f32_e32 v26, v98, v7
	v_mul_f64_e32 v[12:13], s[0:1], v[12:13]
	v_mul_f64_e32 v[22:23], s[0:1], v[22:23]
	;; [unrolled: 1-line block ×5, first 2 shown]
	v_dual_mov_b32 v21, v44 :: v_dual_fmac_f32 v26, v97, v6
	v_cvt_f64_f32_e32 v[6:7], v24
	v_fma_f32 v24, v99, v9, -v29
	v_fma_f32 v29, v101, v11, -v33
	;; [unrolled: 1-line block ×3, first 2 shown]
	v_cvt_f64_f32_e32 v[8:9], v26
	v_cvt_f64_f32_e32 v[34:35], v36
	v_cvt_f64_f32_e32 v[14:15], v24
	v_cvt_f64_f32_e32 v[24:25], v25
	v_cvt_f64_f32_e32 v[36:37], v37
	v_mul_f64_e32 v[38:39], s[0:1], v[38:39]
	v_mul_f64_e32 v[40:41], s[0:1], v[40:41]
	;; [unrolled: 1-line block ×3, first 2 shown]
	v_lshlrev_b64_e32 v[20:21], 3, v[20:21]
	s_delay_alu instid0(VALU_DEP_1) | instskip(SKIP_1) | instid1(VALU_DEP_2)
	v_add_co_u32 v20, vcc_lo, s2, v20
	s_wait_alu 0xfffd
	v_add_co_ci_u32_e32 v21, vcc_lo, s3, v21, vcc_lo
	s_movk_i32 s2, 0xf160
	s_mov_b32 s3, -1
	v_cvt_f32_f64_e32 v0, v[0:1]
	v_cvt_f32_f64_e32 v1, v[2:3]
	s_wait_alu 0xfffe
	s_mul_u64 s[2:3], s[4:5], s[2:3]
	v_cvt_f32_f64_e32 v18, v[18:19]
	v_mad_co_u64_u32 v[45:46], null, s5, v121, v[5:6]
	v_mul_f32_e32 v32, v102, v11
	v_mul_f64_e32 v[6:7], s[0:1], v[6:7]
	v_mul_f64_e32 v[8:9], s[0:1], v[8:9]
	;; [unrolled: 1-line block ×5, first 2 shown]
	v_mov_b32_e32 v5, v45
	v_fmac_f32_e32 v32, v101, v10
	v_cvt_f64_f32_e32 v[10:11], v28
	v_cvt_f64_f32_e32 v[28:29], v29
	v_mul_f64_e32 v[36:37], s[0:1], v[36:37]
	v_lshlrev_b64_e32 v[4:5], 3, v[4:5]
	v_cvt_f64_f32_e32 v[26:27], v32
	v_cvt_f64_f32_e32 v[32:33], v33
	v_cvt_f32_f64_e32 v19, v[38:39]
	s_delay_alu instid0(VALU_DEP_4)
	v_add_co_u32 v2, vcc_lo, v20, v4
	s_wait_alu 0xfffd
	v_add_co_ci_u32_e32 v3, vcc_lo, v21, v5, vcc_lo
	v_cvt_f32_f64_e32 v5, v[12:13]
	v_cvt_f32_f64_e32 v20, v[30:31]
	global_store_b64 v[2:3], v[0:1], off
	v_cvt_f32_f64_e32 v6, v[6:7]
	v_cvt_f32_f64_e32 v4, v[8:9]
	;; [unrolled: 1-line block ×4, first 2 shown]
	v_mul_f64_e32 v[10:11], s[0:1], v[10:11]
	v_mul_f64_e32 v[28:29], s[0:1], v[28:29]
	v_cvt_f32_f64_e32 v23, v[36:37]
	v_mul_f64_e32 v[26:27], s[0:1], v[26:27]
	v_mul_f64_e32 v[32:33], s[0:1], v[32:33]
	s_mul_u64 s[0:1], s[4:5], 0x1248
	s_wait_alu 0xfffe
	v_add_co_u32 v8, vcc_lo, v2, s0
	s_wait_alu 0xfffd
	v_add_co_ci_u32_e32 v9, vcc_lo, s1, v3, vcc_lo
	s_delay_alu instid0(VALU_DEP_2) | instskip(SKIP_1) | instid1(VALU_DEP_2)
	v_add_co_u32 v12, vcc_lo, v8, s2
	s_wait_alu 0xfffd
	v_add_co_ci_u32_e32 v13, vcc_lo, s3, v9, vcc_lo
	s_clause 0x1
	global_store_b64 v[8:9], v[4:5], off
	global_store_b64 v[12:13], v[6:7], off
	v_cvt_f32_f64_e32 v10, v[10:11]
	v_cvt_f32_f64_e32 v11, v[14:15]
	;; [unrolled: 1-line block ×9, first 2 shown]
	v_add_co_u32 v26, vcc_lo, v12, s0
	s_wait_alu 0xfffd
	v_add_co_ci_u32_e32 v27, vcc_lo, s1, v13, vcc_lo
	s_delay_alu instid0(VALU_DEP_2) | instskip(SKIP_1) | instid1(VALU_DEP_2)
	v_add_co_u32 v28, vcc_lo, v26, s2
	s_wait_alu 0xfffd
	v_add_co_ci_u32_e32 v29, vcc_lo, s3, v27, vcc_lo
	s_delay_alu instid0(VALU_DEP_2) | instskip(SKIP_1) | instid1(VALU_DEP_2)
	;; [unrolled: 4-line block ×6, first 2 shown]
	v_add_co_u32 v8, vcc_lo, v6, s0
	s_wait_alu 0xfffd
	v_add_co_ci_u32_e32 v9, vcc_lo, s1, v7, vcc_lo
	s_clause 0x1
	global_store_b64 v[26:27], v[10:11], off
	global_store_b64 v[28:29], v[14:15], off
	;; [unrolled: 1-line block ×7, first 2 shown]
.LBB0_26:
	s_nop 0
	s_sendmsg sendmsg(MSG_DEALLOC_VGPRS)
	s_endpgm
	.section	.rodata,"a",@progbits
	.p2align	6, 0x0
	.amdhsa_kernel bluestein_single_back_len1170_dim1_sp_op_CI_CI
		.amdhsa_group_segment_fixed_size 9360
		.amdhsa_private_segment_fixed_size 0
		.amdhsa_kernarg_size 104
		.amdhsa_user_sgpr_count 2
		.amdhsa_user_sgpr_dispatch_ptr 0
		.amdhsa_user_sgpr_queue_ptr 0
		.amdhsa_user_sgpr_kernarg_segment_ptr 1
		.amdhsa_user_sgpr_dispatch_id 0
		.amdhsa_user_sgpr_private_segment_size 0
		.amdhsa_wavefront_size32 1
		.amdhsa_uses_dynamic_stack 0
		.amdhsa_enable_private_segment 0
		.amdhsa_system_sgpr_workgroup_id_x 1
		.amdhsa_system_sgpr_workgroup_id_y 0
		.amdhsa_system_sgpr_workgroup_id_z 0
		.amdhsa_system_sgpr_workgroup_info 0
		.amdhsa_system_vgpr_workitem_id 0
		.amdhsa_next_free_vgpr 237
		.amdhsa_next_free_sgpr 20
		.amdhsa_reserve_vcc 1
		.amdhsa_float_round_mode_32 0
		.amdhsa_float_round_mode_16_64 0
		.amdhsa_float_denorm_mode_32 3
		.amdhsa_float_denorm_mode_16_64 3
		.amdhsa_fp16_overflow 0
		.amdhsa_workgroup_processor_mode 1
		.amdhsa_memory_ordered 1
		.amdhsa_forward_progress 0
		.amdhsa_round_robin_scheduling 0
		.amdhsa_exception_fp_ieee_invalid_op 0
		.amdhsa_exception_fp_denorm_src 0
		.amdhsa_exception_fp_ieee_div_zero 0
		.amdhsa_exception_fp_ieee_overflow 0
		.amdhsa_exception_fp_ieee_underflow 0
		.amdhsa_exception_fp_ieee_inexact 0
		.amdhsa_exception_int_div_zero 0
	.end_amdhsa_kernel
	.text
.Lfunc_end0:
	.size	bluestein_single_back_len1170_dim1_sp_op_CI_CI, .Lfunc_end0-bluestein_single_back_len1170_dim1_sp_op_CI_CI
                                        ; -- End function
	.section	.AMDGPU.csdata,"",@progbits
; Kernel info:
; codeLenInByte = 16316
; NumSgprs: 22
; NumVgprs: 237
; ScratchSize: 0
; MemoryBound: 0
; FloatMode: 240
; IeeeMode: 1
; LDSByteSize: 9360 bytes/workgroup (compile time only)
; SGPRBlocks: 2
; VGPRBlocks: 29
; NumSGPRsForWavesPerEU: 22
; NumVGPRsForWavesPerEU: 237
; Occupancy: 6
; WaveLimiterHint : 1
; COMPUTE_PGM_RSRC2:SCRATCH_EN: 0
; COMPUTE_PGM_RSRC2:USER_SGPR: 2
; COMPUTE_PGM_RSRC2:TRAP_HANDLER: 0
; COMPUTE_PGM_RSRC2:TGID_X_EN: 1
; COMPUTE_PGM_RSRC2:TGID_Y_EN: 0
; COMPUTE_PGM_RSRC2:TGID_Z_EN: 0
; COMPUTE_PGM_RSRC2:TIDIG_COMP_CNT: 0
	.text
	.p2alignl 7, 3214868480
	.fill 96, 4, 3214868480
	.type	__hip_cuid_2762778b73283f32,@object ; @__hip_cuid_2762778b73283f32
	.section	.bss,"aw",@nobits
	.globl	__hip_cuid_2762778b73283f32
__hip_cuid_2762778b73283f32:
	.byte	0                               ; 0x0
	.size	__hip_cuid_2762778b73283f32, 1

	.ident	"AMD clang version 19.0.0git (https://github.com/RadeonOpenCompute/llvm-project roc-6.4.0 25133 c7fe45cf4b819c5991fe208aaa96edf142730f1d)"
	.section	".note.GNU-stack","",@progbits
	.addrsig
	.addrsig_sym __hip_cuid_2762778b73283f32
	.amdgpu_metadata
---
amdhsa.kernels:
  - .args:
      - .actual_access:  read_only
        .address_space:  global
        .offset:         0
        .size:           8
        .value_kind:     global_buffer
      - .actual_access:  read_only
        .address_space:  global
        .offset:         8
        .size:           8
        .value_kind:     global_buffer
      - .actual_access:  read_only
        .address_space:  global
        .offset:         16
        .size:           8
        .value_kind:     global_buffer
      - .actual_access:  read_only
        .address_space:  global
        .offset:         24
        .size:           8
        .value_kind:     global_buffer
      - .actual_access:  read_only
        .address_space:  global
        .offset:         32
        .size:           8
        .value_kind:     global_buffer
      - .offset:         40
        .size:           8
        .value_kind:     by_value
      - .address_space:  global
        .offset:         48
        .size:           8
        .value_kind:     global_buffer
      - .address_space:  global
        .offset:         56
        .size:           8
        .value_kind:     global_buffer
      - .address_space:  global
        .offset:         64
        .size:           8
        .value_kind:     global_buffer
      - .address_space:  global
        .offset:         72
        .size:           8
        .value_kind:     global_buffer
      - .offset:         80
        .size:           4
        .value_kind:     by_value
      - .address_space:  global
        .offset:         88
        .size:           8
        .value_kind:     global_buffer
      - .address_space:  global
        .offset:         96
        .size:           8
        .value_kind:     global_buffer
    .group_segment_fixed_size: 9360
    .kernarg_segment_align: 8
    .kernarg_segment_size: 104
    .language:       OpenCL C
    .language_version:
      - 2
      - 0
    .max_flat_workgroup_size: 117
    .name:           bluestein_single_back_len1170_dim1_sp_op_CI_CI
    .private_segment_fixed_size: 0
    .sgpr_count:     22
    .sgpr_spill_count: 0
    .symbol:         bluestein_single_back_len1170_dim1_sp_op_CI_CI.kd
    .uniform_work_group_size: 1
    .uses_dynamic_stack: false
    .vgpr_count:     237
    .vgpr_spill_count: 0
    .wavefront_size: 32
    .workgroup_processor_mode: 1
amdhsa.target:   amdgcn-amd-amdhsa--gfx1201
amdhsa.version:
  - 1
  - 2
...

	.end_amdgpu_metadata
